;; amdgpu-corpus repo=ROCm/rocSOLVER kind=compiled arch=gfx906 opt=O3
	.amdgcn_target "amdgcn-amd-amdhsa--gfx906"
	.amdhsa_code_object_version 6
	.section	.text._ZN9rocsolver6v33100L6iota_nIfEEvPT_jS2_,"axG",@progbits,_ZN9rocsolver6v33100L6iota_nIfEEvPT_jS2_,comdat
	.globl	_ZN9rocsolver6v33100L6iota_nIfEEvPT_jS2_ ; -- Begin function _ZN9rocsolver6v33100L6iota_nIfEEvPT_jS2_
	.p2align	8
	.type	_ZN9rocsolver6v33100L6iota_nIfEEvPT_jS2_,@function
_ZN9rocsolver6v33100L6iota_nIfEEvPT_jS2_: ; @_ZN9rocsolver6v33100L6iota_nIfEEvPT_jS2_
; %bb.0:
	s_load_dwordx2 s[0:1], s[4:5], 0x8
	s_waitcnt lgkmcnt(0)
	v_cmp_gt_u32_e32 vcc, s0, v0
	s_and_saveexec_b64 s[2:3], vcc
	s_cbranch_execz .LBB0_2
; %bb.1:
	s_load_dwordx2 s[2:3], s[4:5], 0x0
	v_lshlrev_b32_e32 v1, 2, v0
	v_cvt_f32_ubyte0_e32 v0, v0
	v_add_f32_e32 v0, s1, v0
	s_waitcnt lgkmcnt(0)
	global_store_dword v1, v0, s[2:3]
.LBB0_2:
	s_endpgm
	.section	.rodata,"a",@progbits
	.p2align	6, 0x0
	.amdhsa_kernel _ZN9rocsolver6v33100L6iota_nIfEEvPT_jS2_
		.amdhsa_group_segment_fixed_size 0
		.amdhsa_private_segment_fixed_size 0
		.amdhsa_kernarg_size 16
		.amdhsa_user_sgpr_count 6
		.amdhsa_user_sgpr_private_segment_buffer 1
		.amdhsa_user_sgpr_dispatch_ptr 0
		.amdhsa_user_sgpr_queue_ptr 0
		.amdhsa_user_sgpr_kernarg_segment_ptr 1
		.amdhsa_user_sgpr_dispatch_id 0
		.amdhsa_user_sgpr_flat_scratch_init 0
		.amdhsa_user_sgpr_private_segment_size 0
		.amdhsa_uses_dynamic_stack 0
		.amdhsa_system_sgpr_private_segment_wavefront_offset 0
		.amdhsa_system_sgpr_workgroup_id_x 1
		.amdhsa_system_sgpr_workgroup_id_y 0
		.amdhsa_system_sgpr_workgroup_id_z 0
		.amdhsa_system_sgpr_workgroup_info 0
		.amdhsa_system_vgpr_workitem_id 0
		.amdhsa_next_free_vgpr 2
		.amdhsa_next_free_sgpr 6
		.amdhsa_reserve_vcc 1
		.amdhsa_reserve_flat_scratch 0
		.amdhsa_float_round_mode_32 0
		.amdhsa_float_round_mode_16_64 0
		.amdhsa_float_denorm_mode_32 3
		.amdhsa_float_denorm_mode_16_64 3
		.amdhsa_dx10_clamp 1
		.amdhsa_ieee_mode 1
		.amdhsa_fp16_overflow 0
		.amdhsa_exception_fp_ieee_invalid_op 0
		.amdhsa_exception_fp_denorm_src 0
		.amdhsa_exception_fp_ieee_div_zero 0
		.amdhsa_exception_fp_ieee_overflow 0
		.amdhsa_exception_fp_ieee_underflow 0
		.amdhsa_exception_fp_ieee_inexact 0
		.amdhsa_exception_int_div_zero 0
	.end_amdhsa_kernel
	.section	.text._ZN9rocsolver6v33100L6iota_nIfEEvPT_jS2_,"axG",@progbits,_ZN9rocsolver6v33100L6iota_nIfEEvPT_jS2_,comdat
.Lfunc_end0:
	.size	_ZN9rocsolver6v33100L6iota_nIfEEvPT_jS2_, .Lfunc_end0-_ZN9rocsolver6v33100L6iota_nIfEEvPT_jS2_
                                        ; -- End function
	.set _ZN9rocsolver6v33100L6iota_nIfEEvPT_jS2_.num_vgpr, 2
	.set _ZN9rocsolver6v33100L6iota_nIfEEvPT_jS2_.num_agpr, 0
	.set _ZN9rocsolver6v33100L6iota_nIfEEvPT_jS2_.numbered_sgpr, 6
	.set _ZN9rocsolver6v33100L6iota_nIfEEvPT_jS2_.num_named_barrier, 0
	.set _ZN9rocsolver6v33100L6iota_nIfEEvPT_jS2_.private_seg_size, 0
	.set _ZN9rocsolver6v33100L6iota_nIfEEvPT_jS2_.uses_vcc, 1
	.set _ZN9rocsolver6v33100L6iota_nIfEEvPT_jS2_.uses_flat_scratch, 0
	.set _ZN9rocsolver6v33100L6iota_nIfEEvPT_jS2_.has_dyn_sized_stack, 0
	.set _ZN9rocsolver6v33100L6iota_nIfEEvPT_jS2_.has_recursion, 0
	.set _ZN9rocsolver6v33100L6iota_nIfEEvPT_jS2_.has_indirect_call, 0
	.section	.AMDGPU.csdata,"",@progbits
; Kernel info:
; codeLenInByte = 60
; TotalNumSgprs: 10
; NumVgprs: 2
; ScratchSize: 0
; MemoryBound: 0
; FloatMode: 240
; IeeeMode: 1
; LDSByteSize: 0 bytes/workgroup (compile time only)
; SGPRBlocks: 1
; VGPRBlocks: 0
; NumSGPRsForWavesPerEU: 10
; NumVGPRsForWavesPerEU: 2
; Occupancy: 10
; WaveLimiterHint : 0
; COMPUTE_PGM_RSRC2:SCRATCH_EN: 0
; COMPUTE_PGM_RSRC2:USER_SGPR: 6
; COMPUTE_PGM_RSRC2:TRAP_HANDLER: 0
; COMPUTE_PGM_RSRC2:TGID_X_EN: 1
; COMPUTE_PGM_RSRC2:TGID_Y_EN: 0
; COMPUTE_PGM_RSRC2:TGID_Z_EN: 0
; COMPUTE_PGM_RSRC2:TIDIG_COMP_CNT: 0
	.section	.text._ZN9rocsolver6v33100L10reset_infoIiiiEEvPT_T0_T1_S4_,"axG",@progbits,_ZN9rocsolver6v33100L10reset_infoIiiiEEvPT_T0_T1_S4_,comdat
	.globl	_ZN9rocsolver6v33100L10reset_infoIiiiEEvPT_T0_T1_S4_ ; -- Begin function _ZN9rocsolver6v33100L10reset_infoIiiiEEvPT_T0_T1_S4_
	.p2align	8
	.type	_ZN9rocsolver6v33100L10reset_infoIiiiEEvPT_T0_T1_S4_,@function
_ZN9rocsolver6v33100L10reset_infoIiiiEEvPT_T0_T1_S4_: ; @_ZN9rocsolver6v33100L10reset_infoIiiiEEvPT_T0_T1_S4_
; %bb.0:
	s_load_dword s7, s[4:5], 0x24
	s_load_dwordx4 s[0:3], s[4:5], 0x8
	s_waitcnt lgkmcnt(0)
	s_and_b32 s3, s7, 0xffff
	s_mul_i32 s6, s6, s3
	v_add_u32_e32 v0, s6, v0
	v_cmp_gt_i32_e32 vcc, s0, v0
	s_and_saveexec_b64 s[6:7], vcc
	s_cbranch_execz .LBB1_2
; %bb.1:
	s_load_dwordx2 s[4:5], s[4:5], 0x0
	v_ashrrev_i32_e32 v1, 31, v0
	v_mul_lo_u32 v2, v0, s2
	v_lshlrev_b64 v[0:1], 2, v[0:1]
	s_waitcnt lgkmcnt(0)
	v_mov_b32_e32 v3, s5
	v_add_co_u32_e32 v0, vcc, s4, v0
	v_addc_co_u32_e32 v1, vcc, v3, v1, vcc
	v_add_u32_e32 v2, s1, v2
	global_store_dword v[0:1], v2, off
.LBB1_2:
	s_endpgm
	.section	.rodata,"a",@progbits
	.p2align	6, 0x0
	.amdhsa_kernel _ZN9rocsolver6v33100L10reset_infoIiiiEEvPT_T0_T1_S4_
		.amdhsa_group_segment_fixed_size 0
		.amdhsa_private_segment_fixed_size 0
		.amdhsa_kernarg_size 280
		.amdhsa_user_sgpr_count 6
		.amdhsa_user_sgpr_private_segment_buffer 1
		.amdhsa_user_sgpr_dispatch_ptr 0
		.amdhsa_user_sgpr_queue_ptr 0
		.amdhsa_user_sgpr_kernarg_segment_ptr 1
		.amdhsa_user_sgpr_dispatch_id 0
		.amdhsa_user_sgpr_flat_scratch_init 0
		.amdhsa_user_sgpr_private_segment_size 0
		.amdhsa_uses_dynamic_stack 0
		.amdhsa_system_sgpr_private_segment_wavefront_offset 0
		.amdhsa_system_sgpr_workgroup_id_x 1
		.amdhsa_system_sgpr_workgroup_id_y 0
		.amdhsa_system_sgpr_workgroup_id_z 0
		.amdhsa_system_sgpr_workgroup_info 0
		.amdhsa_system_vgpr_workitem_id 0
		.amdhsa_next_free_vgpr 4
		.amdhsa_next_free_sgpr 8
		.amdhsa_reserve_vcc 1
		.amdhsa_reserve_flat_scratch 0
		.amdhsa_float_round_mode_32 0
		.amdhsa_float_round_mode_16_64 0
		.amdhsa_float_denorm_mode_32 3
		.amdhsa_float_denorm_mode_16_64 3
		.amdhsa_dx10_clamp 1
		.amdhsa_ieee_mode 1
		.amdhsa_fp16_overflow 0
		.amdhsa_exception_fp_ieee_invalid_op 0
		.amdhsa_exception_fp_denorm_src 0
		.amdhsa_exception_fp_ieee_div_zero 0
		.amdhsa_exception_fp_ieee_overflow 0
		.amdhsa_exception_fp_ieee_underflow 0
		.amdhsa_exception_fp_ieee_inexact 0
		.amdhsa_exception_int_div_zero 0
	.end_amdhsa_kernel
	.section	.text._ZN9rocsolver6v33100L10reset_infoIiiiEEvPT_T0_T1_S4_,"axG",@progbits,_ZN9rocsolver6v33100L10reset_infoIiiiEEvPT_T0_T1_S4_,comdat
.Lfunc_end1:
	.size	_ZN9rocsolver6v33100L10reset_infoIiiiEEvPT_T0_T1_S4_, .Lfunc_end1-_ZN9rocsolver6v33100L10reset_infoIiiiEEvPT_T0_T1_S4_
                                        ; -- End function
	.set _ZN9rocsolver6v33100L10reset_infoIiiiEEvPT_T0_T1_S4_.num_vgpr, 4
	.set _ZN9rocsolver6v33100L10reset_infoIiiiEEvPT_T0_T1_S4_.num_agpr, 0
	.set _ZN9rocsolver6v33100L10reset_infoIiiiEEvPT_T0_T1_S4_.numbered_sgpr, 8
	.set _ZN9rocsolver6v33100L10reset_infoIiiiEEvPT_T0_T1_S4_.num_named_barrier, 0
	.set _ZN9rocsolver6v33100L10reset_infoIiiiEEvPT_T0_T1_S4_.private_seg_size, 0
	.set _ZN9rocsolver6v33100L10reset_infoIiiiEEvPT_T0_T1_S4_.uses_vcc, 1
	.set _ZN9rocsolver6v33100L10reset_infoIiiiEEvPT_T0_T1_S4_.uses_flat_scratch, 0
	.set _ZN9rocsolver6v33100L10reset_infoIiiiEEvPT_T0_T1_S4_.has_dyn_sized_stack, 0
	.set _ZN9rocsolver6v33100L10reset_infoIiiiEEvPT_T0_T1_S4_.has_recursion, 0
	.set _ZN9rocsolver6v33100L10reset_infoIiiiEEvPT_T0_T1_S4_.has_indirect_call, 0
	.section	.AMDGPU.csdata,"",@progbits
; Kernel info:
; codeLenInByte = 108
; TotalNumSgprs: 12
; NumVgprs: 4
; ScratchSize: 0
; MemoryBound: 0
; FloatMode: 240
; IeeeMode: 1
; LDSByteSize: 0 bytes/workgroup (compile time only)
; SGPRBlocks: 1
; VGPRBlocks: 0
; NumSGPRsForWavesPerEU: 12
; NumVGPRsForWavesPerEU: 4
; Occupancy: 10
; WaveLimiterHint : 0
; COMPUTE_PGM_RSRC2:SCRATCH_EN: 0
; COMPUTE_PGM_RSRC2:USER_SGPR: 6
; COMPUTE_PGM_RSRC2:TRAP_HANDLER: 0
; COMPUTE_PGM_RSRC2:TGID_X_EN: 1
; COMPUTE_PGM_RSRC2:TGID_Y_EN: 0
; COMPUTE_PGM_RSRC2:TGID_Z_EN: 0
; COMPUTE_PGM_RSRC2:TIDIG_COMP_CNT: 0
	.section	.text._ZN9rocsolver6v33100L17getf2_permut_initIfiEEvT0_PS2_l,"axG",@progbits,_ZN9rocsolver6v33100L17getf2_permut_initIfiEEvT0_PS2_l,comdat
	.globl	_ZN9rocsolver6v33100L17getf2_permut_initIfiEEvT0_PS2_l ; -- Begin function _ZN9rocsolver6v33100L17getf2_permut_initIfiEEvT0_PS2_l
	.p2align	8
	.type	_ZN9rocsolver6v33100L17getf2_permut_initIfiEEvT0_PS2_l,@function
_ZN9rocsolver6v33100L17getf2_permut_initIfiEEvT0_PS2_l: ; @_ZN9rocsolver6v33100L17getf2_permut_initIfiEEvT0_PS2_l
; %bb.0:
	s_load_dword s0, s[4:5], 0x24
	s_load_dword s1, s[4:5], 0x0
	s_waitcnt lgkmcnt(0)
	s_and_b32 s0, s0, 0xffff
	s_mul_i32 s6, s6, s0
	v_add_u32_e32 v0, s6, v0
	v_cmp_gt_i32_e32 vcc, s1, v0
	s_and_saveexec_b64 s[0:1], vcc
	s_cbranch_execz .LBB2_2
; %bb.1:
	s_load_dwordx4 s[0:3], s[4:5], 0x8
	s_ashr_i32 s4, s7, 31
	v_ashrrev_i32_e32 v1, 31, v0
	v_lshlrev_b64 v[1:2], 2, v[0:1]
	s_waitcnt lgkmcnt(0)
	s_mul_hi_u32 s5, s2, s7
	s_mul_i32 s4, s2, s4
	s_mul_i32 s3, s3, s7
	s_add_i32 s4, s5, s4
	s_mul_i32 s2, s2, s7
	s_add_i32 s3, s4, s3
	s_lshl_b64 s[2:3], s[2:3], 2
	s_add_u32 s0, s0, s2
	s_addc_u32 s1, s1, s3
	v_mov_b32_e32 v3, s1
	v_add_co_u32_e32 v1, vcc, s0, v1
	v_addc_co_u32_e32 v2, vcc, v3, v2, vcc
	global_store_dword v[1:2], v0, off
.LBB2_2:
	s_endpgm
	.section	.rodata,"a",@progbits
	.p2align	6, 0x0
	.amdhsa_kernel _ZN9rocsolver6v33100L17getf2_permut_initIfiEEvT0_PS2_l
		.amdhsa_group_segment_fixed_size 0
		.amdhsa_private_segment_fixed_size 0
		.amdhsa_kernarg_size 280
		.amdhsa_user_sgpr_count 6
		.amdhsa_user_sgpr_private_segment_buffer 1
		.amdhsa_user_sgpr_dispatch_ptr 0
		.amdhsa_user_sgpr_queue_ptr 0
		.amdhsa_user_sgpr_kernarg_segment_ptr 1
		.amdhsa_user_sgpr_dispatch_id 0
		.amdhsa_user_sgpr_flat_scratch_init 0
		.amdhsa_user_sgpr_private_segment_size 0
		.amdhsa_uses_dynamic_stack 0
		.amdhsa_system_sgpr_private_segment_wavefront_offset 0
		.amdhsa_system_sgpr_workgroup_id_x 1
		.amdhsa_system_sgpr_workgroup_id_y 1
		.amdhsa_system_sgpr_workgroup_id_z 0
		.amdhsa_system_sgpr_workgroup_info 0
		.amdhsa_system_vgpr_workitem_id 0
		.amdhsa_next_free_vgpr 4
		.amdhsa_next_free_sgpr 8
		.amdhsa_reserve_vcc 1
		.amdhsa_reserve_flat_scratch 0
		.amdhsa_float_round_mode_32 0
		.amdhsa_float_round_mode_16_64 0
		.amdhsa_float_denorm_mode_32 3
		.amdhsa_float_denorm_mode_16_64 3
		.amdhsa_dx10_clamp 1
		.amdhsa_ieee_mode 1
		.amdhsa_fp16_overflow 0
		.amdhsa_exception_fp_ieee_invalid_op 0
		.amdhsa_exception_fp_denorm_src 0
		.amdhsa_exception_fp_ieee_div_zero 0
		.amdhsa_exception_fp_ieee_overflow 0
		.amdhsa_exception_fp_ieee_underflow 0
		.amdhsa_exception_fp_ieee_inexact 0
		.amdhsa_exception_int_div_zero 0
	.end_amdhsa_kernel
	.section	.text._ZN9rocsolver6v33100L17getf2_permut_initIfiEEvT0_PS2_l,"axG",@progbits,_ZN9rocsolver6v33100L17getf2_permut_initIfiEEvT0_PS2_l,comdat
.Lfunc_end2:
	.size	_ZN9rocsolver6v33100L17getf2_permut_initIfiEEvT0_PS2_l, .Lfunc_end2-_ZN9rocsolver6v33100L17getf2_permut_initIfiEEvT0_PS2_l
                                        ; -- End function
	.set _ZN9rocsolver6v33100L17getf2_permut_initIfiEEvT0_PS2_l.num_vgpr, 4
	.set _ZN9rocsolver6v33100L17getf2_permut_initIfiEEvT0_PS2_l.num_agpr, 0
	.set _ZN9rocsolver6v33100L17getf2_permut_initIfiEEvT0_PS2_l.numbered_sgpr, 8
	.set _ZN9rocsolver6v33100L17getf2_permut_initIfiEEvT0_PS2_l.num_named_barrier, 0
	.set _ZN9rocsolver6v33100L17getf2_permut_initIfiEEvT0_PS2_l.private_seg_size, 0
	.set _ZN9rocsolver6v33100L17getf2_permut_initIfiEEvT0_PS2_l.uses_vcc, 1
	.set _ZN9rocsolver6v33100L17getf2_permut_initIfiEEvT0_PS2_l.uses_flat_scratch, 0
	.set _ZN9rocsolver6v33100L17getf2_permut_initIfiEEvT0_PS2_l.has_dyn_sized_stack, 0
	.set _ZN9rocsolver6v33100L17getf2_permut_initIfiEEvT0_PS2_l.has_recursion, 0
	.set _ZN9rocsolver6v33100L17getf2_permut_initIfiEEvT0_PS2_l.has_indirect_call, 0
	.section	.AMDGPU.csdata,"",@progbits
; Kernel info:
; codeLenInByte = 136
; TotalNumSgprs: 12
; NumVgprs: 4
; ScratchSize: 0
; MemoryBound: 0
; FloatMode: 240
; IeeeMode: 1
; LDSByteSize: 0 bytes/workgroup (compile time only)
; SGPRBlocks: 1
; VGPRBlocks: 0
; NumSGPRsForWavesPerEU: 12
; NumVGPRsForWavesPerEU: 4
; Occupancy: 10
; WaveLimiterHint : 0
; COMPUTE_PGM_RSRC2:SCRATCH_EN: 0
; COMPUTE_PGM_RSRC2:USER_SGPR: 6
; COMPUTE_PGM_RSRC2:TRAP_HANDLER: 0
; COMPUTE_PGM_RSRC2:TGID_X_EN: 1
; COMPUTE_PGM_RSRC2:TGID_Y_EN: 1
; COMPUTE_PGM_RSRC2:TGID_Z_EN: 0
; COMPUTE_PGM_RSRC2:TIDIG_COMP_CNT: 0
	.section	.text._ZN9rocsolver6v33100L11getf2_iamaxIfiPfEEvT0_T1_lS3_lPS3_,"axG",@progbits,_ZN9rocsolver6v33100L11getf2_iamaxIfiPfEEvT0_T1_lS3_lPS3_,comdat
	.globl	_ZN9rocsolver6v33100L11getf2_iamaxIfiPfEEvT0_T1_lS3_lPS3_ ; -- Begin function _ZN9rocsolver6v33100L11getf2_iamaxIfiPfEEvT0_T1_lS3_lPS3_
	.p2align	8
	.type	_ZN9rocsolver6v33100L11getf2_iamaxIfiPfEEvT0_T1_lS3_lPS3_,@function
_ZN9rocsolver6v33100L11getf2_iamaxIfiPfEEvT0_T1_lS3_lPS3_: ; @_ZN9rocsolver6v33100L11getf2_iamaxIfiPfEEvT0_T1_lS3_lPS3_
; %bb.0:
	s_load_dword s12, s[4:5], 0x0
	s_load_dwordx4 s[8:11], s[4:5], 0x20
	s_mov_b32 s6, s7
	s_ashr_i32 s7, s7, 31
	v_mov_b32_e32 v3, 0
	s_waitcnt lgkmcnt(0)
	v_cmp_gt_i32_e32 vcc, s12, v0
	v_bfrev_b32_e32 v4, -2
	s_and_saveexec_b64 s[2:3], vcc
	s_cbranch_execz .LBB3_4
; %bb.1:
	s_load_dwordx4 s[16:19], s[4:5], 0x8
	s_load_dword s13, s[4:5], 0x18
	s_mul_i32 s0, s8, s7
	s_mul_hi_u32 s1, s8, s6
	s_add_i32 s0, s1, s0
	s_mul_i32 s1, s9, s6
	s_add_i32 s1, s0, s1
	s_mul_i32 s0, s8, s6
	s_lshl_b64 s[0:1], s[0:1], 2
	s_waitcnt lgkmcnt(0)
	s_add_u32 s4, s16, s0
	s_addc_u32 s5, s17, s1
	s_lshl_b64 s[0:1], s[18:19], 2
	v_mul_lo_u32 v1, v0, s13
	s_add_u32 s8, s4, s0
	s_addc_u32 s0, s5, s1
	s_lshl_b32 s9, s13, 10
	v_mov_b32_e32 v3, 0
	v_bfrev_b32_e32 v4, -2
	s_mov_b64 s[4:5], 0
	v_mov_b32_e32 v5, s0
	s_brev_b32 s13, -2
	v_mov_b32_e32 v6, v0
.LBB3_2:                                ; =>This Inner Loop Header: Depth=1
	v_ashrrev_i32_e32 v2, 31, v1
	v_lshlrev_b64 v[7:8], 2, v[1:2]
	v_add_u32_e32 v1, s9, v1
	v_add_co_u32_e32 v7, vcc, s8, v7
	v_addc_co_u32_e32 v8, vcc, v5, v8, vcc
	global_load_dword v2, v[7:8], off
	v_cmp_eq_u32_e32 vcc, s13, v4
	v_add_u32_e32 v7, 1, v6
	v_add_u32_e32 v6, 0x400, v6
	v_cmp_le_i32_e64 s[0:1], s12, v6
	s_waitcnt vmcnt(0)
	v_cmp_lt_f32_e64 s[14:15], v3, |v2|
	s_or_b64 vcc, s[14:15], vcc
	v_cndmask_b32_e64 v3, v3, |v2|, vcc
	s_or_b64 s[4:5], s[0:1], s[4:5]
	v_cndmask_b32_e32 v4, v4, v7, vcc
	s_andn2_b64 exec, exec, s[4:5]
	s_cbranch_execnz .LBB3_2
; %bb.3:
	s_or_b64 exec, exec, s[4:5]
.LBB3_4:
	s_or_b64 exec, exec, s[2:3]
	v_lshlrev_b32_e32 v1, 2, v0
	s_cmp_lt_i32 s12, 2
	ds_write2st64_b32 v1, v4, v3 offset1:16
	s_waitcnt lgkmcnt(0)
	s_barrier
	s_cbranch_scc0 .LBB3_7
; %bb.5:
	v_cmp_eq_u32_e32 vcc, 0, v0
	s_and_saveexec_b64 s[0:1], vcc
	s_cbranch_execnz .LBB3_53
.LBB3_6:
	s_endpgm
.LBB3_7:
	s_movk_i32 s0, 0x200
	v_or_b32_e32 v2, 0x1000, v1
	v_cmp_gt_u32_e32 vcc, s0, v0
	s_and_saveexec_b64 s[2:3], vcc
	s_cbranch_execz .LBB3_13
; %bb.8:
	ds_read_b32 v5, v2 offset:2048
	ds_read_b32 v6, v1 offset:2048
	s_waitcnt lgkmcnt(1)
	v_cmp_lt_f32_e64 s[4:5], v3, v5
	v_cmp_nlt_f32_e32 vcc, v3, v5
	s_and_saveexec_b64 s[8:9], vcc
	s_cbranch_execz .LBB3_10
; %bb.9:
	v_cmp_eq_f32_e32 vcc, v3, v5
	s_waitcnt lgkmcnt(0)
	v_cmp_gt_i32_e64 s[0:1], v4, v6
	s_and_b64 s[0:1], vcc, s[0:1]
	s_andn2_b64 s[4:5], s[4:5], exec
	s_and_b64 s[0:1], s[0:1], exec
	s_or_b64 s[4:5], s[4:5], s[0:1]
.LBB3_10:
	s_or_b64 exec, exec, s[8:9]
	s_and_saveexec_b64 s[0:1], s[4:5]
	s_cbranch_execz .LBB3_12
; %bb.11:
	s_waitcnt lgkmcnt(0)
	v_mov_b32_e32 v4, v6
	v_mov_b32_e32 v3, v5
	ds_write_b32 v2, v5
	ds_write_b32 v1, v6
.LBB3_12:
	s_or_b64 exec, exec, s[0:1]
.LBB3_13:
	s_or_b64 exec, exec, s[2:3]
	s_movk_i32 s0, 0x100
	v_cmp_gt_u32_e32 vcc, s0, v0
	s_waitcnt lgkmcnt(0)
	s_barrier
	s_and_saveexec_b64 s[2:3], vcc
	s_cbranch_execz .LBB3_19
; %bb.14:
	ds_read_b32 v5, v2 offset:1024
	ds_read_b32 v6, v1 offset:1024
	s_waitcnt lgkmcnt(1)
	v_cmp_lt_f32_e64 s[4:5], v3, v5
	v_cmp_nlt_f32_e32 vcc, v3, v5
	s_and_saveexec_b64 s[8:9], vcc
	s_cbranch_execz .LBB3_16
; %bb.15:
	v_cmp_eq_f32_e32 vcc, v3, v5
	s_waitcnt lgkmcnt(0)
	v_cmp_gt_i32_e64 s[0:1], v4, v6
	s_and_b64 s[0:1], vcc, s[0:1]
	s_andn2_b64 s[4:5], s[4:5], exec
	s_and_b64 s[0:1], s[0:1], exec
	s_or_b64 s[4:5], s[4:5], s[0:1]
.LBB3_16:
	s_or_b64 exec, exec, s[8:9]
	s_and_saveexec_b64 s[0:1], s[4:5]
	s_cbranch_execz .LBB3_18
; %bb.17:
	s_waitcnt lgkmcnt(0)
	v_mov_b32_e32 v4, v6
	v_mov_b32_e32 v3, v5
	ds_write_b32 v2, v5
	ds_write_b32 v1, v6
.LBB3_18:
	s_or_b64 exec, exec, s[0:1]
.LBB3_19:
	s_or_b64 exec, exec, s[2:3]
	s_movk_i32 s0, 0x80
	v_cmp_gt_u32_e32 vcc, s0, v0
	s_waitcnt lgkmcnt(0)
	s_barrier
	s_and_saveexec_b64 s[2:3], vcc
	s_cbranch_execz .LBB3_25
; %bb.20:
	ds_read_b32 v5, v2 offset:512
	ds_read_b32 v6, v1 offset:512
	s_waitcnt lgkmcnt(1)
	v_cmp_lt_f32_e64 s[4:5], v3, v5
	v_cmp_nlt_f32_e32 vcc, v3, v5
	s_and_saveexec_b64 s[8:9], vcc
	s_cbranch_execz .LBB3_22
; %bb.21:
	v_cmp_eq_f32_e32 vcc, v3, v5
	s_waitcnt lgkmcnt(0)
	v_cmp_gt_i32_e64 s[0:1], v4, v6
	s_and_b64 s[0:1], vcc, s[0:1]
	s_andn2_b64 s[4:5], s[4:5], exec
	s_and_b64 s[0:1], s[0:1], exec
	s_or_b64 s[4:5], s[4:5], s[0:1]
.LBB3_22:
	s_or_b64 exec, exec, s[8:9]
	s_and_saveexec_b64 s[0:1], s[4:5]
	s_cbranch_execz .LBB3_24
; %bb.23:
	s_waitcnt lgkmcnt(0)
	v_mov_b32_e32 v4, v6
	v_mov_b32_e32 v3, v5
	ds_write_b32 v2, v5
	ds_write_b32 v1, v6
.LBB3_24:
	s_or_b64 exec, exec, s[0:1]
.LBB3_25:
	s_or_b64 exec, exec, s[2:3]
	v_cmp_gt_u32_e32 vcc, 64, v0
	s_waitcnt lgkmcnt(0)
	s_barrier
	s_and_saveexec_b64 s[4:5], vcc
	s_cbranch_execz .LBB3_52
; %bb.26:
	ds_read_b32 v5, v2 offset:256
	ds_read_b32 v6, v1 offset:256
	s_waitcnt lgkmcnt(1)
	v_cmp_lt_f32_e64 s[2:3], v3, v5
	v_cmp_nlt_f32_e32 vcc, v3, v5
	s_and_saveexec_b64 s[8:9], vcc
	s_cbranch_execz .LBB3_28
; %bb.27:
	v_cmp_eq_f32_e32 vcc, v3, v5
	s_waitcnt lgkmcnt(0)
	v_cmp_gt_i32_e64 s[0:1], v4, v6
	s_and_b64 s[0:1], vcc, s[0:1]
	s_andn2_b64 s[2:3], s[2:3], exec
	s_and_b64 s[0:1], s[0:1], exec
	s_or_b64 s[2:3], s[2:3], s[0:1]
.LBB3_28:
	s_or_b64 exec, exec, s[8:9]
	s_and_saveexec_b64 s[0:1], s[2:3]
	s_cbranch_execz .LBB3_30
; %bb.29:
	v_mov_b32_e32 v3, v5
	s_waitcnt lgkmcnt(0)
	v_mov_b32_e32 v4, v6
	ds_write_b32 v2, v5
	ds_write_b32 v1, v6
.LBB3_30:
	s_or_b64 exec, exec, s[0:1]
	ds_read_b32 v5, v2 offset:128
	s_waitcnt lgkmcnt(1)
	ds_read_b32 v6, v1 offset:128
	s_waitcnt lgkmcnt(1)
	v_cmp_lt_f32_e64 s[2:3], v3, v5
	v_cmp_nlt_f32_e32 vcc, v3, v5
	s_and_saveexec_b64 s[8:9], vcc
	s_cbranch_execz .LBB3_32
; %bb.31:
	v_cmp_eq_f32_e32 vcc, v3, v5
	s_waitcnt lgkmcnt(0)
	v_cmp_gt_i32_e64 s[0:1], v4, v6
	s_and_b64 s[0:1], vcc, s[0:1]
	s_andn2_b64 s[2:3], s[2:3], exec
	s_and_b64 s[0:1], s[0:1], exec
	s_or_b64 s[2:3], s[2:3], s[0:1]
.LBB3_32:
	s_or_b64 exec, exec, s[8:9]
	s_and_saveexec_b64 s[0:1], s[2:3]
	s_cbranch_execz .LBB3_34
; %bb.33:
	v_mov_b32_e32 v3, v5
	s_waitcnt lgkmcnt(0)
	v_mov_b32_e32 v4, v6
	ds_write_b32 v2, v5
	ds_write_b32 v1, v6
.LBB3_34:
	s_or_b64 exec, exec, s[0:1]
	ds_read_b32 v5, v2 offset:64
	s_waitcnt lgkmcnt(1)
	;; [unrolled: 28-line block ×6, first 2 shown]
	ds_read_b32 v6, v1 offset:4
	s_waitcnt lgkmcnt(1)
	v_cmp_eq_f32_e64 s[0:1], v3, v5
	s_waitcnt lgkmcnt(0)
	v_cmp_gt_i32_e64 s[2:3], v4, v6
	v_cmp_lt_f32_e32 vcc, v3, v5
	s_and_b64 s[0:1], s[0:1], s[2:3]
	s_or_b64 s[0:1], vcc, s[0:1]
	s_and_b64 exec, exec, s[0:1]
	s_cbranch_execz .LBB3_52
; %bb.51:
	ds_write_b32 v2, v5
	ds_write_b32 v1, v6
.LBB3_52:
	s_or_b64 exec, exec, s[4:5]
	v_cmp_eq_u32_e32 vcc, 0, v0
	s_and_saveexec_b64 s[0:1], vcc
	s_cbranch_execz .LBB3_6
.LBB3_53:
	v_mov_b32_e32 v0, 0
	ds_read_b32 v1, v0
	s_lshl_b64 s[0:1], s[6:7], 2
	s_add_u32 s0, s10, s0
	s_addc_u32 s1, s11, s1
	s_waitcnt lgkmcnt(0)
	global_store_dword v0, v1, s[0:1]
	s_endpgm
	.section	.rodata,"a",@progbits
	.p2align	6, 0x0
	.amdhsa_kernel _ZN9rocsolver6v33100L11getf2_iamaxIfiPfEEvT0_T1_lS3_lPS3_
		.amdhsa_group_segment_fixed_size 8192
		.amdhsa_private_segment_fixed_size 0
		.amdhsa_kernarg_size 48
		.amdhsa_user_sgpr_count 6
		.amdhsa_user_sgpr_private_segment_buffer 1
		.amdhsa_user_sgpr_dispatch_ptr 0
		.amdhsa_user_sgpr_queue_ptr 0
		.amdhsa_user_sgpr_kernarg_segment_ptr 1
		.amdhsa_user_sgpr_dispatch_id 0
		.amdhsa_user_sgpr_flat_scratch_init 0
		.amdhsa_user_sgpr_private_segment_size 0
		.amdhsa_uses_dynamic_stack 0
		.amdhsa_system_sgpr_private_segment_wavefront_offset 0
		.amdhsa_system_sgpr_workgroup_id_x 1
		.amdhsa_system_sgpr_workgroup_id_y 1
		.amdhsa_system_sgpr_workgroup_id_z 0
		.amdhsa_system_sgpr_workgroup_info 0
		.amdhsa_system_vgpr_workitem_id 0
		.amdhsa_next_free_vgpr 29
		.amdhsa_next_free_sgpr 61
		.amdhsa_reserve_vcc 1
		.amdhsa_reserve_flat_scratch 0
		.amdhsa_float_round_mode_32 0
		.amdhsa_float_round_mode_16_64 0
		.amdhsa_float_denorm_mode_32 3
		.amdhsa_float_denorm_mode_16_64 3
		.amdhsa_dx10_clamp 1
		.amdhsa_ieee_mode 1
		.amdhsa_fp16_overflow 0
		.amdhsa_exception_fp_ieee_invalid_op 0
		.amdhsa_exception_fp_denorm_src 0
		.amdhsa_exception_fp_ieee_div_zero 0
		.amdhsa_exception_fp_ieee_overflow 0
		.amdhsa_exception_fp_ieee_underflow 0
		.amdhsa_exception_fp_ieee_inexact 0
		.amdhsa_exception_int_div_zero 0
	.end_amdhsa_kernel
	.section	.text._ZN9rocsolver6v33100L11getf2_iamaxIfiPfEEvT0_T1_lS3_lPS3_,"axG",@progbits,_ZN9rocsolver6v33100L11getf2_iamaxIfiPfEEvT0_T1_lS3_lPS3_,comdat
.Lfunc_end3:
	.size	_ZN9rocsolver6v33100L11getf2_iamaxIfiPfEEvT0_T1_lS3_lPS3_, .Lfunc_end3-_ZN9rocsolver6v33100L11getf2_iamaxIfiPfEEvT0_T1_lS3_lPS3_
                                        ; -- End function
	.set _ZN9rocsolver6v33100L11getf2_iamaxIfiPfEEvT0_T1_lS3_lPS3_.num_vgpr, 9
	.set _ZN9rocsolver6v33100L11getf2_iamaxIfiPfEEvT0_T1_lS3_lPS3_.num_agpr, 0
	.set _ZN9rocsolver6v33100L11getf2_iamaxIfiPfEEvT0_T1_lS3_lPS3_.numbered_sgpr, 20
	.set _ZN9rocsolver6v33100L11getf2_iamaxIfiPfEEvT0_T1_lS3_lPS3_.num_named_barrier, 0
	.set _ZN9rocsolver6v33100L11getf2_iamaxIfiPfEEvT0_T1_lS3_lPS3_.private_seg_size, 0
	.set _ZN9rocsolver6v33100L11getf2_iamaxIfiPfEEvT0_T1_lS3_lPS3_.uses_vcc, 1
	.set _ZN9rocsolver6v33100L11getf2_iamaxIfiPfEEvT0_T1_lS3_lPS3_.uses_flat_scratch, 0
	.set _ZN9rocsolver6v33100L11getf2_iamaxIfiPfEEvT0_T1_lS3_lPS3_.has_dyn_sized_stack, 0
	.set _ZN9rocsolver6v33100L11getf2_iamaxIfiPfEEvT0_T1_lS3_lPS3_.has_recursion, 0
	.set _ZN9rocsolver6v33100L11getf2_iamaxIfiPfEEvT0_T1_lS3_lPS3_.has_indirect_call, 0
	.section	.AMDGPU.csdata,"",@progbits
; Kernel info:
; codeLenInByte = 1604
; TotalNumSgprs: 24
; NumVgprs: 9
; ScratchSize: 0
; MemoryBound: 0
; FloatMode: 240
; IeeeMode: 1
; LDSByteSize: 8192 bytes/workgroup (compile time only)
; SGPRBlocks: 8
; VGPRBlocks: 7
; NumSGPRsForWavesPerEU: 65
; NumVGPRsForWavesPerEU: 29
; Occupancy: 8
; WaveLimiterHint : 0
; COMPUTE_PGM_RSRC2:SCRATCH_EN: 0
; COMPUTE_PGM_RSRC2:USER_SGPR: 6
; COMPUTE_PGM_RSRC2:TRAP_HANDLER: 0
; COMPUTE_PGM_RSRC2:TGID_X_EN: 1
; COMPUTE_PGM_RSRC2:TGID_Y_EN: 1
; COMPUTE_PGM_RSRC2:TGID_Z_EN: 0
; COMPUTE_PGM_RSRC2:TIDIG_COMP_CNT: 0
	.section	.text._ZN9rocsolver6v33100L23getf2_check_singularityIfiiPfEEvT0_S3_T2_lS3_S3_lPS3_llPT_S5_PT1_S3_S5_l,"axG",@progbits,_ZN9rocsolver6v33100L23getf2_check_singularityIfiiPfEEvT0_S3_T2_lS3_S3_lPS3_llPT_S5_PT1_S3_S5_l,comdat
	.globl	_ZN9rocsolver6v33100L23getf2_check_singularityIfiiPfEEvT0_S3_T2_lS3_S3_lPS3_llPT_S5_PT1_S3_S5_l ; -- Begin function _ZN9rocsolver6v33100L23getf2_check_singularityIfiiPfEEvT0_S3_T2_lS3_S3_lPS3_llPT_S5_PT1_S3_S5_l
	.p2align	8
	.type	_ZN9rocsolver6v33100L23getf2_check_singularityIfiiPfEEvT0_S3_T2_lS3_S3_lPS3_llPT_S5_PT1_S3_S5_l,@function
_ZN9rocsolver6v33100L23getf2_check_singularityIfiiPfEEvT0_S3_T2_lS3_S3_lPS3_llPT_S5_PT1_S3_S5_l: ; @_ZN9rocsolver6v33100L23getf2_check_singularityIfiiPfEEvT0_S3_T2_lS3_S3_lPS3_llPT_S5_PT1_S3_S5_l
; %bb.0:
	s_load_dword s0, s[4:5], 0x7c
	s_load_dwordx2 s[24:25], s[4:5], 0x0
	s_waitcnt lgkmcnt(0)
	s_and_b32 s0, s0, 0xffff
	s_mul_i32 s6, s6, s0
	v_add_u32_e32 v0, s6, v0
	v_cmp_gt_i32_e32 vcc, s24, v0
	s_and_saveexec_b64 s[0:1], vcc
	s_cbranch_execz .LBB4_8
; %bb.1:
	s_load_dwordx8 s[8:15], s[4:5], 0x20
	s_load_dwordx4 s[16:19], s[4:5], 0x8
	s_load_dwordx2 s[26:27], s[4:5], 0x18
	s_load_dwordx4 s[0:3], s[4:5], 0x40
	s_ashr_i32 s29, s7, 31
	s_mov_b32 s28, s7
	s_waitcnt lgkmcnt(0)
	s_mul_hi_u32 s6, s8, s7
	s_mul_i32 s7, s8, s29
	s_add_i32 s6, s6, s7
	s_mul_i32 s7, s9, s28
	s_add_i32 s7, s6, s7
	s_mul_i32 s6, s8, s28
	s_lshl_b64 s[6:7], s[6:7], 2
	s_add_u32 s8, s16, s6
	s_addc_u32 s9, s17, s7
	s_lshl_b64 s[6:7], s[18:19], 2
	s_add_u32 s24, s8, s6
	s_addc_u32 s30, s9, s7
	;; [unrolled: 3-line block ×3, first 2 shown]
	s_load_dword s2, s[2:3], 0x0
	s_waitcnt lgkmcnt(0)
	s_add_i32 s3, s2, s25
	s_add_i32 s16, s3, -1
	s_cmp_eq_u32 s16, s25
	s_cselect_b64 s[8:9], -1, 0
	s_and_b64 vcc, exec, s[8:9]
	s_cbranch_vccnz .LBB4_3
; %bb.2:
	v_mul_lo_u32 v3, v0, s27
	s_mul_i32 s17, s26, s25
	s_mul_i32 s16, s16, s26
	v_mov_b32_e32 v4, s30
	v_add_u32_e32 v1, s17, v3
	v_ashrrev_i32_e32 v2, 31, v1
	v_lshlrev_b64 v[1:2], 2, v[1:2]
	v_add_u32_e32 v3, s16, v3
	v_add_co_u32_e32 v1, vcc, s24, v1
	v_addc_co_u32_e32 v2, vcc, v4, v2, vcc
	v_ashrrev_i32_e32 v4, 31, v3
	v_lshlrev_b64 v[3:4], 2, v[3:4]
	v_mov_b32_e32 v5, s30
	v_add_co_u32_e32 v3, vcc, s24, v3
	v_addc_co_u32_e32 v4, vcc, v5, v4, vcc
	global_load_dword v5, v[3:4], off
	global_load_dword v6, v[1:2], off
	s_waitcnt vmcnt(1)
	global_store_dword v[1:2], v5, off
	s_waitcnt vmcnt(1)
	global_store_dword v[3:4], v6, off
.LBB4_3:
	v_cmp_eq_u32_e32 vcc, s25, v0
	s_and_b64 exec, exec, vcc
	s_cbranch_execz .LBB4_8
; %bb.4:
	s_load_dwordx4 s[16:19], s[4:5], 0x50
	s_waitcnt lgkmcnt(0)
	s_load_dword s18, s[4:5], 0x58
	s_load_dwordx4 s[20:23], s[4:5], 0x60
	s_mul_i32 s4, s14, s29
	s_mul_hi_u32 s5, s14, s28
	s_add_i32 s4, s5, s4
	s_mul_i32 s5, s15, s28
	s_add_i32 s5, s4, s5
	s_mul_i32 s4, s14, s28
	s_lshl_b64 s[4:5], s[4:5], 2
	s_add_u32 s10, s10, s4
	s_addc_u32 s11, s11, s5
	s_lshl_b64 s[4:5], s[12:13], 2
	s_add_u32 s10, s10, s4
	s_addc_u32 s11, s11, s5
	s_ashr_i32 s5, s25, 31
	s_mov_b32 s4, s25
	s_waitcnt lgkmcnt(0)
	s_add_i32 s3, s3, s18
	s_lshl_b64 s[4:5], s[4:5], 2
	s_add_u32 s10, s10, s4
	s_addc_u32 s11, s11, s5
	v_mov_b32_e32 v0, 0
	v_mov_b32_e32 v1, s3
	s_cmp_eq_u64 s[20:21], 0
	global_store_dword v0, v1, s[10:11]
	s_cselect_b64 s[10:11], -1, 0
	s_or_b64 s[8:9], s[10:11], s[8:9]
	s_and_b64 vcc, exec, s[8:9]
	s_cbranch_vccnz .LBB4_6
; %bb.5:
	s_mul_i32 s3, s22, s29
	s_mul_hi_u32 s8, s22, s28
	s_add_i32 s3, s8, s3
	s_mul_i32 s8, s23, s28
	s_add_i32 s9, s3, s8
	s_mul_i32 s8, s22, s28
	s_lshl_b64 s[8:9], s[8:9], 2
	s_add_u32 s3, s20, s8
	s_addc_u32 s8, s21, s9
	s_add_u32 s4, s3, s4
	s_addc_u32 s5, s8, s5
	s_ashr_i32 s3, s2, 31
	s_lshl_b64 s[2:3], s[2:3], 2
	s_add_u32 s2, s4, s2
	s_addc_u32 s3, s5, s3
	global_load_dword v1, v0, s[2:3] offset:-4
	global_load_dword v2, v0, s[4:5]
	s_waitcnt vmcnt(1)
	global_store_dword v0, v1, s[4:5]
	s_waitcnt vmcnt(1)
	global_store_dword v0, v2, s[2:3] offset:-4
.LBB4_6:
	s_add_i32 s2, s27, s26
	s_mul_i32 s2, s2, s25
	s_ashr_i32 s3, s2, 31
	s_lshl_b64 s[2:3], s[2:3], 2
	s_add_u32 s2, s24, s2
	s_addc_u32 s3, s30, s3
	global_load_dword v0, v0, s[2:3]
	s_waitcnt vmcnt(0)
	v_cmp_neq_f32_e32 vcc, 0, v0
	s_cbranch_vccz .LBB4_9
; %bb.7:
	v_div_scale_f32 v1, s[2:3], v0, v0, 1.0
	v_div_scale_f32 v2, vcc, 1.0, v0, 1.0
	s_add_u32 s2, s0, s6
	s_addc_u32 s3, s1, s7
	v_rcp_f32_e32 v3, v1
	v_fma_f32 v4, -v1, v3, 1.0
	v_fmac_f32_e32 v3, v4, v3
	v_mul_f32_e32 v4, v2, v3
	v_fma_f32 v5, -v1, v4, v2
	v_fmac_f32_e32 v4, v5, v3
	v_fma_f32 v1, -v1, v4, v2
	v_div_fmas_f32 v1, v1, v3, v4
	v_mov_b32_e32 v2, 0
	v_div_fixup_f32 v0, v1, v0, 1.0
	global_store_dword v2, v0, s[2:3]
	s_cbranch_execz .LBB4_10
.LBB4_8:
	s_endpgm
.LBB4_9:
.LBB4_10:
	s_add_u32 s2, s0, s6
	s_addc_u32 s3, s1, s7
	s_add_u32 s0, s16, s6
	v_mov_b32_e32 v0, 0
	s_addc_u32 s1, s17, s7
	global_load_dword v1, v0, s[0:1]
	v_mov_b32_e32 v2, 1.0
	global_store_dword v0, v2, s[2:3]
	s_waitcnt vmcnt(1)
	v_cmp_ne_u32_e32 vcc, 0, v1
	s_cbranch_vccnz .LBB4_8
; %bb.11:
	s_add_i32 s2, s25, s18
	s_add_i32 s2, s2, 1
	v_mov_b32_e32 v1, s2
	global_store_dword v0, v1, s[0:1]
	s_endpgm
	.section	.rodata,"a",@progbits
	.p2align	6, 0x0
	.amdhsa_kernel _ZN9rocsolver6v33100L23getf2_check_singularityIfiiPfEEvT0_S3_T2_lS3_S3_lPS3_llPT_S5_PT1_S3_S5_l
		.amdhsa_group_segment_fixed_size 0
		.amdhsa_private_segment_fixed_size 0
		.amdhsa_kernarg_size 368
		.amdhsa_user_sgpr_count 6
		.amdhsa_user_sgpr_private_segment_buffer 1
		.amdhsa_user_sgpr_dispatch_ptr 0
		.amdhsa_user_sgpr_queue_ptr 0
		.amdhsa_user_sgpr_kernarg_segment_ptr 1
		.amdhsa_user_sgpr_dispatch_id 0
		.amdhsa_user_sgpr_flat_scratch_init 0
		.amdhsa_user_sgpr_private_segment_size 0
		.amdhsa_uses_dynamic_stack 0
		.amdhsa_system_sgpr_private_segment_wavefront_offset 0
		.amdhsa_system_sgpr_workgroup_id_x 1
		.amdhsa_system_sgpr_workgroup_id_y 1
		.amdhsa_system_sgpr_workgroup_id_z 0
		.amdhsa_system_sgpr_workgroup_info 0
		.amdhsa_system_vgpr_workitem_id 0
		.amdhsa_next_free_vgpr 7
		.amdhsa_next_free_sgpr 31
		.amdhsa_reserve_vcc 1
		.amdhsa_reserve_flat_scratch 0
		.amdhsa_float_round_mode_32 0
		.amdhsa_float_round_mode_16_64 0
		.amdhsa_float_denorm_mode_32 3
		.amdhsa_float_denorm_mode_16_64 3
		.amdhsa_dx10_clamp 1
		.amdhsa_ieee_mode 1
		.amdhsa_fp16_overflow 0
		.amdhsa_exception_fp_ieee_invalid_op 0
		.amdhsa_exception_fp_denorm_src 0
		.amdhsa_exception_fp_ieee_div_zero 0
		.amdhsa_exception_fp_ieee_overflow 0
		.amdhsa_exception_fp_ieee_underflow 0
		.amdhsa_exception_fp_ieee_inexact 0
		.amdhsa_exception_int_div_zero 0
	.end_amdhsa_kernel
	.section	.text._ZN9rocsolver6v33100L23getf2_check_singularityIfiiPfEEvT0_S3_T2_lS3_S3_lPS3_llPT_S5_PT1_S3_S5_l,"axG",@progbits,_ZN9rocsolver6v33100L23getf2_check_singularityIfiiPfEEvT0_S3_T2_lS3_S3_lPS3_llPT_S5_PT1_S3_S5_l,comdat
.Lfunc_end4:
	.size	_ZN9rocsolver6v33100L23getf2_check_singularityIfiiPfEEvT0_S3_T2_lS3_S3_lPS3_llPT_S5_PT1_S3_S5_l, .Lfunc_end4-_ZN9rocsolver6v33100L23getf2_check_singularityIfiiPfEEvT0_S3_T2_lS3_S3_lPS3_llPT_S5_PT1_S3_S5_l
                                        ; -- End function
	.set _ZN9rocsolver6v33100L23getf2_check_singularityIfiiPfEEvT0_S3_T2_lS3_S3_lPS3_llPT_S5_PT1_S3_S5_l.num_vgpr, 7
	.set _ZN9rocsolver6v33100L23getf2_check_singularityIfiiPfEEvT0_S3_T2_lS3_S3_lPS3_llPT_S5_PT1_S3_S5_l.num_agpr, 0
	.set _ZN9rocsolver6v33100L23getf2_check_singularityIfiiPfEEvT0_S3_T2_lS3_S3_lPS3_llPT_S5_PT1_S3_S5_l.numbered_sgpr, 31
	.set _ZN9rocsolver6v33100L23getf2_check_singularityIfiiPfEEvT0_S3_T2_lS3_S3_lPS3_llPT_S5_PT1_S3_S5_l.num_named_barrier, 0
	.set _ZN9rocsolver6v33100L23getf2_check_singularityIfiiPfEEvT0_S3_T2_lS3_S3_lPS3_llPT_S5_PT1_S3_S5_l.private_seg_size, 0
	.set _ZN9rocsolver6v33100L23getf2_check_singularityIfiiPfEEvT0_S3_T2_lS3_S3_lPS3_llPT_S5_PT1_S3_S5_l.uses_vcc, 1
	.set _ZN9rocsolver6v33100L23getf2_check_singularityIfiiPfEEvT0_S3_T2_lS3_S3_lPS3_llPT_S5_PT1_S3_S5_l.uses_flat_scratch, 0
	.set _ZN9rocsolver6v33100L23getf2_check_singularityIfiiPfEEvT0_S3_T2_lS3_S3_lPS3_llPT_S5_PT1_S3_S5_l.has_dyn_sized_stack, 0
	.set _ZN9rocsolver6v33100L23getf2_check_singularityIfiiPfEEvT0_S3_T2_lS3_S3_lPS3_llPT_S5_PT1_S3_S5_l.has_recursion, 0
	.set _ZN9rocsolver6v33100L23getf2_check_singularityIfiiPfEEvT0_S3_T2_lS3_S3_lPS3_llPT_S5_PT1_S3_S5_l.has_indirect_call, 0
	.section	.AMDGPU.csdata,"",@progbits
; Kernel info:
; codeLenInByte = 772
; TotalNumSgprs: 35
; NumVgprs: 7
; ScratchSize: 0
; MemoryBound: 0
; FloatMode: 240
; IeeeMode: 1
; LDSByteSize: 0 bytes/workgroup (compile time only)
; SGPRBlocks: 4
; VGPRBlocks: 1
; NumSGPRsForWavesPerEU: 35
; NumVGPRsForWavesPerEU: 7
; Occupancy: 10
; WaveLimiterHint : 1
; COMPUTE_PGM_RSRC2:SCRATCH_EN: 0
; COMPUTE_PGM_RSRC2:USER_SGPR: 6
; COMPUTE_PGM_RSRC2:TRAP_HANDLER: 0
; COMPUTE_PGM_RSRC2:TGID_X_EN: 1
; COMPUTE_PGM_RSRC2:TGID_Y_EN: 1
; COMPUTE_PGM_RSRC2:TGID_Z_EN: 0
; COMPUTE_PGM_RSRC2:TIDIG_COMP_CNT: 0
	.section	.text._ZN9rocsolver6v33100L28getf2_npvt_check_singularityIfiiPfEEvT0_T2_lS3_S3_lPT_PT1_S3_,"axG",@progbits,_ZN9rocsolver6v33100L28getf2_npvt_check_singularityIfiiPfEEvT0_T2_lS3_S3_lPT_PT1_S3_,comdat
	.globl	_ZN9rocsolver6v33100L28getf2_npvt_check_singularityIfiiPfEEvT0_T2_lS3_S3_lPT_PT1_S3_ ; -- Begin function _ZN9rocsolver6v33100L28getf2_npvt_check_singularityIfiiPfEEvT0_T2_lS3_S3_lPT_PT1_S3_
	.p2align	8
	.type	_ZN9rocsolver6v33100L28getf2_npvt_check_singularityIfiiPfEEvT0_T2_lS3_S3_lPT_PT1_S3_,@function
_ZN9rocsolver6v33100L28getf2_npvt_check_singularityIfiiPfEEvT0_T2_lS3_S3_lPT_PT1_S3_: ; @_ZN9rocsolver6v33100L28getf2_npvt_check_singularityIfiiPfEEvT0_T2_lS3_S3_lPT_PT1_S3_
; %bb.0:
	s_load_dwordx4 s[0:3], s[4:5], 0x20
	s_load_dwordx2 s[10:11], s[4:5], 0x18
	s_load_dword s8, s[4:5], 0x0
	s_load_dwordx4 s[12:15], s[4:5], 0x8
	s_mov_b32 s6, s7
	s_ashr_i32 s7, s7, 31
	s_waitcnt lgkmcnt(0)
	s_mul_hi_u32 s9, s0, s6
	s_mul_i32 s16, s0, s7
	s_add_i32 s9, s9, s16
	s_mul_i32 s1, s1, s6
	s_add_i32 s1, s9, s1
	s_mul_i32 s0, s0, s6
	s_lshl_b64 s[0:1], s[0:1], 2
	s_add_u32 s9, s12, s0
	s_addc_u32 s12, s13, s1
	s_lshl_b64 s[0:1], s[14:15], 2
	s_add_u32 s9, s9, s0
	s_addc_u32 s12, s12, s1
	s_add_i32 s0, s11, s10
	s_mul_i32 s0, s0, s8
	s_ashr_i32 s1, s0, 31
	s_lshl_b64 s[0:1], s[0:1], 2
	s_add_u32 s0, s9, s0
	s_addc_u32 s1, s12, s1
	s_load_dword s0, s[0:1], 0x0
	s_waitcnt lgkmcnt(0)
	v_cmp_neq_f32_e64 s[10:11], s0, 0
	s_and_b64 vcc, exec, s[10:11]
	s_cbranch_vccz .LBB5_3
; %bb.1:
	v_div_scale_f32 v0, s[10:11], s0, s0, 1.0
	v_div_scale_f32 v1, vcc, 1.0, s0, 1.0
	s_lshl_b64 s[10:11], s[6:7], 2
	s_add_u32 s10, s2, s10
	s_addc_u32 s11, s3, s11
	v_rcp_f32_e32 v2, v0
	v_fma_f32 v3, -v0, v2, 1.0
	v_fmac_f32_e32 v2, v3, v2
	v_mul_f32_e32 v3, v1, v2
	v_fma_f32 v4, -v0, v3, v1
	v_fmac_f32_e32 v3, v4, v2
	v_fma_f32 v0, -v0, v3, v1
	v_div_fmas_f32 v0, v0, v2, v3
	v_mov_b32_e32 v1, 0
	v_div_fixup_f32 v0, v0, s0, 1.0
	global_store_dword v1, v0, s[10:11]
	s_cbranch_execz .LBB5_4
.LBB5_2:
	s_endpgm
.LBB5_3:
.LBB5_4:
	s_load_dwordx2 s[0:1], s[4:5], 0x30
	s_lshl_b64 s[6:7], s[6:7], 2
	s_add_u32 s2, s2, s6
	s_addc_u32 s3, s3, s7
	v_mov_b32_e32 v0, 0
	s_waitcnt lgkmcnt(0)
	s_add_u32 s0, s0, s6
	s_addc_u32 s1, s1, s7
	s_load_dword s6, s[0:1], 0x0
	v_mov_b32_e32 v1, 1.0
	global_store_dword v0, v1, s[2:3]
	s_waitcnt lgkmcnt(0)
	s_cmp_lg_u32 s6, 0
	s_cbranch_scc1 .LBB5_2
; %bb.5:
	s_load_dword s2, s[4:5], 0x38
	s_waitcnt lgkmcnt(0)
	s_add_i32 s2, s8, s2
	s_add_i32 s2, s2, 1
	v_mov_b32_e32 v1, s2
	global_store_dword v0, v1, s[0:1]
	s_endpgm
	.section	.rodata,"a",@progbits
	.p2align	6, 0x0
	.amdhsa_kernel _ZN9rocsolver6v33100L28getf2_npvt_check_singularityIfiiPfEEvT0_T2_lS3_S3_lPT_PT1_S3_
		.amdhsa_group_segment_fixed_size 0
		.amdhsa_private_segment_fixed_size 0
		.amdhsa_kernarg_size 60
		.amdhsa_user_sgpr_count 6
		.amdhsa_user_sgpr_private_segment_buffer 1
		.amdhsa_user_sgpr_dispatch_ptr 0
		.amdhsa_user_sgpr_queue_ptr 0
		.amdhsa_user_sgpr_kernarg_segment_ptr 1
		.amdhsa_user_sgpr_dispatch_id 0
		.amdhsa_user_sgpr_flat_scratch_init 0
		.amdhsa_user_sgpr_private_segment_size 0
		.amdhsa_uses_dynamic_stack 0
		.amdhsa_system_sgpr_private_segment_wavefront_offset 0
		.amdhsa_system_sgpr_workgroup_id_x 1
		.amdhsa_system_sgpr_workgroup_id_y 1
		.amdhsa_system_sgpr_workgroup_id_z 0
		.amdhsa_system_sgpr_workgroup_info 0
		.amdhsa_system_vgpr_workitem_id 0
		.amdhsa_next_free_vgpr 5
		.amdhsa_next_free_sgpr 17
		.amdhsa_reserve_vcc 1
		.amdhsa_reserve_flat_scratch 0
		.amdhsa_float_round_mode_32 0
		.amdhsa_float_round_mode_16_64 0
		.amdhsa_float_denorm_mode_32 3
		.amdhsa_float_denorm_mode_16_64 3
		.amdhsa_dx10_clamp 1
		.amdhsa_ieee_mode 1
		.amdhsa_fp16_overflow 0
		.amdhsa_exception_fp_ieee_invalid_op 0
		.amdhsa_exception_fp_denorm_src 0
		.amdhsa_exception_fp_ieee_div_zero 0
		.amdhsa_exception_fp_ieee_overflow 0
		.amdhsa_exception_fp_ieee_underflow 0
		.amdhsa_exception_fp_ieee_inexact 0
		.amdhsa_exception_int_div_zero 0
	.end_amdhsa_kernel
	.section	.text._ZN9rocsolver6v33100L28getf2_npvt_check_singularityIfiiPfEEvT0_T2_lS3_S3_lPT_PT1_S3_,"axG",@progbits,_ZN9rocsolver6v33100L28getf2_npvt_check_singularityIfiiPfEEvT0_T2_lS3_S3_lPT_PT1_S3_,comdat
.Lfunc_end5:
	.size	_ZN9rocsolver6v33100L28getf2_npvt_check_singularityIfiiPfEEvT0_T2_lS3_S3_lPT_PT1_S3_, .Lfunc_end5-_ZN9rocsolver6v33100L28getf2_npvt_check_singularityIfiiPfEEvT0_T2_lS3_S3_lPT_PT1_S3_
                                        ; -- End function
	.set _ZN9rocsolver6v33100L28getf2_npvt_check_singularityIfiiPfEEvT0_T2_lS3_S3_lPT_PT1_S3_.num_vgpr, 5
	.set _ZN9rocsolver6v33100L28getf2_npvt_check_singularityIfiiPfEEvT0_T2_lS3_S3_lPT_PT1_S3_.num_agpr, 0
	.set _ZN9rocsolver6v33100L28getf2_npvt_check_singularityIfiiPfEEvT0_T2_lS3_S3_lPT_PT1_S3_.numbered_sgpr, 17
	.set _ZN9rocsolver6v33100L28getf2_npvt_check_singularityIfiiPfEEvT0_T2_lS3_S3_lPT_PT1_S3_.num_named_barrier, 0
	.set _ZN9rocsolver6v33100L28getf2_npvt_check_singularityIfiiPfEEvT0_T2_lS3_S3_lPT_PT1_S3_.private_seg_size, 0
	.set _ZN9rocsolver6v33100L28getf2_npvt_check_singularityIfiiPfEEvT0_T2_lS3_S3_lPT_PT1_S3_.uses_vcc, 1
	.set _ZN9rocsolver6v33100L28getf2_npvt_check_singularityIfiiPfEEvT0_T2_lS3_S3_lPT_PT1_S3_.uses_flat_scratch, 0
	.set _ZN9rocsolver6v33100L28getf2_npvt_check_singularityIfiiPfEEvT0_T2_lS3_S3_lPT_PT1_S3_.has_dyn_sized_stack, 0
	.set _ZN9rocsolver6v33100L28getf2_npvt_check_singularityIfiiPfEEvT0_T2_lS3_S3_lPT_PT1_S3_.has_recursion, 0
	.set _ZN9rocsolver6v33100L28getf2_npvt_check_singularityIfiiPfEEvT0_T2_lS3_S3_lPT_PT1_S3_.has_indirect_call, 0
	.section	.AMDGPU.csdata,"",@progbits
; Kernel info:
; codeLenInByte = 352
; TotalNumSgprs: 21
; NumVgprs: 5
; ScratchSize: 0
; MemoryBound: 0
; FloatMode: 240
; IeeeMode: 1
; LDSByteSize: 0 bytes/workgroup (compile time only)
; SGPRBlocks: 2
; VGPRBlocks: 1
; NumSGPRsForWavesPerEU: 21
; NumVGPRsForWavesPerEU: 5
; Occupancy: 10
; WaveLimiterHint : 0
; COMPUTE_PGM_RSRC2:SCRATCH_EN: 0
; COMPUTE_PGM_RSRC2:USER_SGPR: 6
; COMPUTE_PGM_RSRC2:TRAP_HANDLER: 0
; COMPUTE_PGM_RSRC2:TGID_X_EN: 1
; COMPUTE_PGM_RSRC2:TGID_Y_EN: 1
; COMPUTE_PGM_RSRC2:TGID_Z_EN: 0
; COMPUTE_PGM_RSRC2:TIDIG_COMP_CNT: 0
	.section	.text._ZN9rocsolver6v33100L19getrf_row_permutateIfiPfEEvT0_S3_S3_T1_lS3_S3_lPS3_l,"axG",@progbits,_ZN9rocsolver6v33100L19getrf_row_permutateIfiPfEEvT0_S3_S3_T1_lS3_S3_lPS3_l,comdat
	.globl	_ZN9rocsolver6v33100L19getrf_row_permutateIfiPfEEvT0_S3_S3_T1_lS3_S3_lPS3_l ; -- Begin function _ZN9rocsolver6v33100L19getrf_row_permutateIfiPfEEvT0_S3_S3_T1_lS3_S3_lPS3_l
	.p2align	8
	.type	_ZN9rocsolver6v33100L19getrf_row_permutateIfiPfEEvT0_S3_S3_T1_lS3_S3_lPS3_l,@function
_ZN9rocsolver6v33100L19getrf_row_permutateIfiPfEEvT0_S3_S3_T1_lS3_S3_lPS3_l: ; @_ZN9rocsolver6v33100L19getrf_row_permutateIfiPfEEvT0_S3_S3_T1_lS3_S3_lPS3_l
; %bb.0:
	s_load_dword s2, s[4:5], 0x4c
	s_load_dwordx4 s[12:15], s[4:5], 0x0
	s_add_u32 s0, s4, 64
	s_addc_u32 s1, s5, 0
	s_waitcnt lgkmcnt(0)
	s_lshr_b32 s2, s2, 16
	s_mul_i32 s7, s7, s2
	v_add_u32_e32 v2, s7, v1
	v_mov_b32_e32 v3, s14
	v_cmp_le_i32_e32 vcc, s13, v2
	v_cndmask_b32_e32 v3, 0, v3, vcc
	v_add_u32_e32 v2, v3, v2
	v_cmp_gt_i32_e32 vcc, s12, v2
	s_and_saveexec_b64 s[2:3], vcc
	s_cbranch_execz .LBB6_2
; %bb.1:
	s_load_dword s9, s[0:1], 0xc
	s_load_dwordx4 s[12:15], s[4:5], 0x28
	s_load_dwordx4 s[16:19], s[4:5], 0x10
	s_load_dwordx2 s[2:3], s[4:5], 0x20
	s_load_dwordx2 s[6:7], s[4:5], 0x38
	s_ashr_i32 s5, s8, 31
	s_waitcnt lgkmcnt(0)
	s_mul_hi_u32 s0, s12, s8
	s_mul_i32 s1, s12, s5
	s_add_i32 s0, s0, s1
	s_mul_i32 s1, s13, s8
	s_add_i32 s1, s0, s1
	s_mul_i32 s0, s12, s8
	s_and_b32 s4, s9, 0xffff
	s_lshl_b64 s[0:1], s[0:1], 2
	s_add_u32 s9, s16, s0
	s_addc_u32 s10, s17, s1
	s_lshl_b64 s[0:1], s[18:19], 2
	s_add_u32 s9, s9, s0
	s_addc_u32 s10, s10, s1
	s_mul_hi_u32 s0, s6, s8
	s_mul_i32 s1, s6, s5
	s_add_i32 s0, s0, s1
	s_mul_i32 s1, s7, s8
	s_add_i32 s1, s0, s1
	s_mul_i32 s0, s6, s8
	s_lshl_b64 s[0:1], s[0:1], 2
	s_add_u32 s0, s14, s0
	s_addc_u32 s1, s15, s1
	v_lshlrev_b32_e32 v7, 2, v0
	global_load_dword v3, v7, s[0:1]
	v_mov_b32_e32 v6, s1
	v_mul_lo_u32 v2, v2, s3
	v_mov_b32_e32 v8, s10
	v_mov_b32_e32 v9, s10
	s_waitcnt vmcnt(0)
	v_ashrrev_i32_e32 v4, 31, v3
	v_lshlrev_b64 v[4:5], 2, v[3:4]
	v_add_co_u32_e32 v4, vcc, s0, v4
	v_addc_co_u32_e32 v5, vcc, v6, v5, vcc
	global_load_dword v5, v[4:5], off
	v_mad_u64_u32 v[3:4], s[0:1], v3, s2, v[2:3]
	v_ashrrev_i32_e32 v4, 31, v3
	v_lshlrev_b64 v[3:4], 2, v[3:4]
	s_waitcnt vmcnt(0)
	v_mad_u64_u32 v[5:6], s[0:1], v5, s2, v[2:3]
	v_add_co_u32_e32 v3, vcc, s9, v3
	v_ashrrev_i32_e32 v6, 31, v5
	v_lshlrev_b64 v[5:6], 2, v[5:6]
	v_addc_co_u32_e32 v4, vcc, v8, v4, vcc
	v_add_co_u32_e32 v5, vcc, s9, v5
	v_addc_co_u32_e32 v6, vcc, v9, v6, vcc
	global_load_dword v8, v[3:4], off
	global_load_dword v9, v[5:6], off
	v_mad_u64_u32 v[5:6], s[0:1], s2, v0, v[2:3]
	v_mul_u32_u24_e32 v0, s4, v1
	v_lshlrev_b32_e32 v0, 2, v0
	v_add3_u32 v2, 0, v7, v0
	v_ashrrev_i32_e32 v6, 31, v5
	v_lshlrev_b64 v[0:1], 2, v[5:6]
	v_add_co_u32_e32 v0, vcc, s9, v0
	s_waitcnt vmcnt(1)
	ds_write_b32 v2, v8
	s_waitcnt vmcnt(0)
	global_store_dword v[3:4], v9, off
	s_waitcnt vmcnt(0) lgkmcnt(0)
	s_barrier
	ds_read_b32 v2, v2
	v_mov_b32_e32 v3, s10
	v_addc_co_u32_e32 v1, vcc, v3, v1, vcc
	s_waitcnt lgkmcnt(0)
	global_store_dword v[0:1], v2, off
.LBB6_2:
	s_endpgm
	.section	.rodata,"a",@progbits
	.p2align	6, 0x0
	.amdhsa_kernel _ZN9rocsolver6v33100L19getrf_row_permutateIfiPfEEvT0_S3_S3_T1_lS3_S3_lPS3_l
		.amdhsa_group_segment_fixed_size 0
		.amdhsa_private_segment_fixed_size 0
		.amdhsa_kernarg_size 320
		.amdhsa_user_sgpr_count 6
		.amdhsa_user_sgpr_private_segment_buffer 1
		.amdhsa_user_sgpr_dispatch_ptr 0
		.amdhsa_user_sgpr_queue_ptr 0
		.amdhsa_user_sgpr_kernarg_segment_ptr 1
		.amdhsa_user_sgpr_dispatch_id 0
		.amdhsa_user_sgpr_flat_scratch_init 0
		.amdhsa_user_sgpr_private_segment_size 0
		.amdhsa_uses_dynamic_stack 0
		.amdhsa_system_sgpr_private_segment_wavefront_offset 0
		.amdhsa_system_sgpr_workgroup_id_x 1
		.amdhsa_system_sgpr_workgroup_id_y 1
		.amdhsa_system_sgpr_workgroup_id_z 1
		.amdhsa_system_sgpr_workgroup_info 0
		.amdhsa_system_vgpr_workitem_id 1
		.amdhsa_next_free_vgpr 10
		.amdhsa_next_free_sgpr 20
		.amdhsa_reserve_vcc 1
		.amdhsa_reserve_flat_scratch 0
		.amdhsa_float_round_mode_32 0
		.amdhsa_float_round_mode_16_64 0
		.amdhsa_float_denorm_mode_32 3
		.amdhsa_float_denorm_mode_16_64 3
		.amdhsa_dx10_clamp 1
		.amdhsa_ieee_mode 1
		.amdhsa_fp16_overflow 0
		.amdhsa_exception_fp_ieee_invalid_op 0
		.amdhsa_exception_fp_denorm_src 0
		.amdhsa_exception_fp_ieee_div_zero 0
		.amdhsa_exception_fp_ieee_overflow 0
		.amdhsa_exception_fp_ieee_underflow 0
		.amdhsa_exception_fp_ieee_inexact 0
		.amdhsa_exception_int_div_zero 0
	.end_amdhsa_kernel
	.section	.text._ZN9rocsolver6v33100L19getrf_row_permutateIfiPfEEvT0_S3_S3_T1_lS3_S3_lPS3_l,"axG",@progbits,_ZN9rocsolver6v33100L19getrf_row_permutateIfiPfEEvT0_S3_S3_T1_lS3_S3_lPS3_l,comdat
.Lfunc_end6:
	.size	_ZN9rocsolver6v33100L19getrf_row_permutateIfiPfEEvT0_S3_S3_T1_lS3_S3_lPS3_l, .Lfunc_end6-_ZN9rocsolver6v33100L19getrf_row_permutateIfiPfEEvT0_S3_S3_T1_lS3_S3_lPS3_l
                                        ; -- End function
	.set _ZN9rocsolver6v33100L19getrf_row_permutateIfiPfEEvT0_S3_S3_T1_lS3_S3_lPS3_l.num_vgpr, 10
	.set _ZN9rocsolver6v33100L19getrf_row_permutateIfiPfEEvT0_S3_S3_T1_lS3_S3_lPS3_l.num_agpr, 0
	.set _ZN9rocsolver6v33100L19getrf_row_permutateIfiPfEEvT0_S3_S3_T1_lS3_S3_lPS3_l.numbered_sgpr, 20
	.set _ZN9rocsolver6v33100L19getrf_row_permutateIfiPfEEvT0_S3_S3_T1_lS3_S3_lPS3_l.num_named_barrier, 0
	.set _ZN9rocsolver6v33100L19getrf_row_permutateIfiPfEEvT0_S3_S3_T1_lS3_S3_lPS3_l.private_seg_size, 0
	.set _ZN9rocsolver6v33100L19getrf_row_permutateIfiPfEEvT0_S3_S3_T1_lS3_S3_lPS3_l.uses_vcc, 1
	.set _ZN9rocsolver6v33100L19getrf_row_permutateIfiPfEEvT0_S3_S3_T1_lS3_S3_lPS3_l.uses_flat_scratch, 0
	.set _ZN9rocsolver6v33100L19getrf_row_permutateIfiPfEEvT0_S3_S3_T1_lS3_S3_lPS3_l.has_dyn_sized_stack, 0
	.set _ZN9rocsolver6v33100L19getrf_row_permutateIfiPfEEvT0_S3_S3_T1_lS3_S3_lPS3_l.has_recursion, 0
	.set _ZN9rocsolver6v33100L19getrf_row_permutateIfiPfEEvT0_S3_S3_T1_lS3_S3_lPS3_l.has_indirect_call, 0
	.section	.AMDGPU.csdata,"",@progbits
; Kernel info:
; codeLenInByte = 452
; TotalNumSgprs: 24
; NumVgprs: 10
; ScratchSize: 0
; MemoryBound: 0
; FloatMode: 240
; IeeeMode: 1
; LDSByteSize: 0 bytes/workgroup (compile time only)
; SGPRBlocks: 2
; VGPRBlocks: 2
; NumSGPRsForWavesPerEU: 24
; NumVGPRsForWavesPerEU: 10
; Occupancy: 10
; WaveLimiterHint : 1
; COMPUTE_PGM_RSRC2:SCRATCH_EN: 0
; COMPUTE_PGM_RSRC2:USER_SGPR: 6
; COMPUTE_PGM_RSRC2:TRAP_HANDLER: 0
; COMPUTE_PGM_RSRC2:TGID_X_EN: 1
; COMPUTE_PGM_RSRC2:TGID_Y_EN: 1
; COMPUTE_PGM_RSRC2:TGID_Z_EN: 1
; COMPUTE_PGM_RSRC2:TIDIG_COMP_CNT: 1
	.section	.text._ZN9rocsolver6v33100L8copy_matIfPfS2_NS0_7no_maskEEEviiT0_iilT1_iilT2_13rocblas_fill_17rocblas_diagonal_,"axG",@progbits,_ZN9rocsolver6v33100L8copy_matIfPfS2_NS0_7no_maskEEEviiT0_iilT1_iilT2_13rocblas_fill_17rocblas_diagonal_,comdat
	.globl	_ZN9rocsolver6v33100L8copy_matIfPfS2_NS0_7no_maskEEEviiT0_iilT1_iilT2_13rocblas_fill_17rocblas_diagonal_ ; -- Begin function _ZN9rocsolver6v33100L8copy_matIfPfS2_NS0_7no_maskEEEviiT0_iilT1_iilT2_13rocblas_fill_17rocblas_diagonal_
	.p2align	8
	.type	_ZN9rocsolver6v33100L8copy_matIfPfS2_NS0_7no_maskEEEviiT0_iilT1_iilT2_13rocblas_fill_17rocblas_diagonal_,@function
_ZN9rocsolver6v33100L8copy_matIfPfS2_NS0_7no_maskEEEviiT0_iilT1_iilT2_13rocblas_fill_17rocblas_diagonal_: ; @_ZN9rocsolver6v33100L8copy_matIfPfS2_NS0_7no_maskEEEviiT0_iilT1_iilT2_13rocblas_fill_17rocblas_diagonal_
; %bb.0:
	s_load_dword s2, s[4:5], 0x54
	s_load_dwordx2 s[0:1], s[4:5], 0x0
	s_waitcnt lgkmcnt(0)
	s_lshr_b32 s3, s2, 16
	s_and_b32 s2, s2, 0xffff
	s_mul_i32 s7, s7, s3
	s_mul_i32 s6, s6, s2
	v_add_u32_e32 v1, s7, v1
	v_add_u32_e32 v0, s6, v0
	v_cmp_gt_u32_e32 vcc, s0, v0
	v_cmp_gt_u32_e64 s[0:1], s1, v1
	s_and_b64 s[0:1], s[0:1], vcc
	s_and_saveexec_b64 s[2:3], s[0:1]
	s_cbranch_execz .LBB7_14
; %bb.1:
	s_load_dwordx2 s[2:3], s[4:5], 0x3c
	s_waitcnt lgkmcnt(0)
	s_cmpk_lt_i32 s2, 0x7a
	s_cbranch_scc1 .LBB7_4
; %bb.2:
	s_cmpk_gt_i32 s2, 0x7a
	s_cbranch_scc0 .LBB7_5
; %bb.3:
	s_cmpk_lg_i32 s2, 0x7b
	s_mov_b64 s[6:7], -1
	s_cselect_b64 s[10:11], -1, 0
	s_cbranch_execz .LBB7_6
	s_branch .LBB7_7
.LBB7_4:
	s_mov_b64 s[10:11], 0
	s_mov_b64 s[6:7], 0
	s_cbranch_execnz .LBB7_8
	s_branch .LBB7_10
.LBB7_5:
	s_mov_b64 s[6:7], 0
	s_mov_b64 s[10:11], 0
.LBB7_6:
	v_cmp_gt_u32_e32 vcc, v0, v1
	v_cmp_le_u32_e64 s[0:1], v0, v1
	s_andn2_b64 s[6:7], s[6:7], exec
	s_and_b64 s[12:13], vcc, exec
	s_andn2_b64 s[10:11], s[10:11], exec
	s_and_b64 s[0:1], s[0:1], exec
	s_or_b64 s[6:7], s[6:7], s[12:13]
	s_or_b64 s[10:11], s[10:11], s[0:1]
.LBB7_7:
	s_branch .LBB7_10
.LBB7_8:
	s_cmpk_eq_i32 s2, 0x79
	s_mov_b64 s[10:11], -1
	s_cbranch_scc0 .LBB7_10
; %bb.9:
	v_cmp_gt_u32_e32 vcc, v1, v0
	v_cmp_le_u32_e64 s[0:1], v1, v0
	s_andn2_b64 s[6:7], s[6:7], exec
	s_and_b64 s[10:11], vcc, exec
	s_or_b64 s[6:7], s[6:7], s[10:11]
	s_orn2_b64 s[10:11], s[0:1], exec
.LBB7_10:
	s_and_saveexec_b64 s[0:1], s[10:11]
; %bb.11:
	s_cmpk_eq_i32 s3, 0x83
	s_cselect_b64 s[2:3], -1, 0
	v_cmp_eq_u32_e32 vcc, v0, v1
	s_and_b64 s[2:3], s[2:3], vcc
	s_andn2_b64 s[6:7], s[6:7], exec
	s_and_b64 s[2:3], s[2:3], exec
	s_or_b64 s[6:7], s[6:7], s[2:3]
; %bb.12:
	s_or_b64 exec, exec, s[0:1]
	s_and_b64 exec, exec, s[6:7]
	s_cbranch_execz .LBB7_14
; %bb.13:
	s_load_dwordx8 s[12:19], s[4:5], 0x8
	s_waitcnt lgkmcnt(0)
	s_mul_i32 s3, s17, s8
	s_mul_hi_u32 s6, s16, s8
	s_mul_i32 s2, s16, s8
	s_add_i32 s3, s6, s3
	s_ashr_i32 s1, s14, 31
	s_lshl_b64 s[2:3], s[2:3], 2
	s_add_u32 s6, s12, s2
	s_addc_u32 s7, s13, s3
	v_mad_u64_u32 v[2:3], s[2:3], v1, s15, v[0:1]
	s_mov_b32 s0, s14
	s_lshl_b64 s[0:1], s[0:1], 2
	v_mov_b32_e32 v3, 0
	s_add_u32 s0, s6, s0
	v_lshlrev_b64 v[4:5], 2, v[2:3]
	s_addc_u32 s1, s7, s1
	v_mov_b32_e32 v2, s1
	v_add_co_u32_e32 v4, vcc, s0, v4
	v_addc_co_u32_e32 v5, vcc, v2, v5, vcc
	global_load_dword v2, v[4:5], off
	s_load_dwordx4 s[0:3], s[4:5], 0x28
	s_waitcnt lgkmcnt(0)
	s_ashr_i32 s5, s0, 31
	s_mov_b32 s4, s0
	s_mul_i32 s0, s3, s8
	s_mul_hi_u32 s3, s2, s8
	s_add_i32 s3, s3, s0
	s_mul_i32 s2, s2, s8
	v_mad_u64_u32 v[0:1], s[0:1], v1, s1, v[0:1]
	s_lshl_b64 s[2:3], s[2:3], 2
	s_add_u32 s6, s18, s2
	s_addc_u32 s7, s19, s3
	s_lshl_b64 s[2:3], s[4:5], 2
	v_mov_b32_e32 v1, v3
	s_add_u32 s0, s6, s2
	v_lshlrev_b64 v[0:1], 2, v[0:1]
	s_addc_u32 s1, s7, s3
	v_mov_b32_e32 v3, s1
	v_add_co_u32_e32 v0, vcc, s0, v0
	v_addc_co_u32_e32 v1, vcc, v3, v1, vcc
	s_waitcnt vmcnt(0)
	global_store_dword v[0:1], v2, off
.LBB7_14:
	s_endpgm
	.section	.rodata,"a",@progbits
	.p2align	6, 0x0
	.amdhsa_kernel _ZN9rocsolver6v33100L8copy_matIfPfS2_NS0_7no_maskEEEviiT0_iilT1_iilT2_13rocblas_fill_17rocblas_diagonal_
		.amdhsa_group_segment_fixed_size 0
		.amdhsa_private_segment_fixed_size 0
		.amdhsa_kernarg_size 328
		.amdhsa_user_sgpr_count 6
		.amdhsa_user_sgpr_private_segment_buffer 1
		.amdhsa_user_sgpr_dispatch_ptr 0
		.amdhsa_user_sgpr_queue_ptr 0
		.amdhsa_user_sgpr_kernarg_segment_ptr 1
		.amdhsa_user_sgpr_dispatch_id 0
		.amdhsa_user_sgpr_flat_scratch_init 0
		.amdhsa_user_sgpr_private_segment_size 0
		.amdhsa_uses_dynamic_stack 0
		.amdhsa_system_sgpr_private_segment_wavefront_offset 0
		.amdhsa_system_sgpr_workgroup_id_x 1
		.amdhsa_system_sgpr_workgroup_id_y 1
		.amdhsa_system_sgpr_workgroup_id_z 1
		.amdhsa_system_sgpr_workgroup_info 0
		.amdhsa_system_vgpr_workitem_id 1
		.amdhsa_next_free_vgpr 6
		.amdhsa_next_free_sgpr 20
		.amdhsa_reserve_vcc 1
		.amdhsa_reserve_flat_scratch 0
		.amdhsa_float_round_mode_32 0
		.amdhsa_float_round_mode_16_64 0
		.amdhsa_float_denorm_mode_32 3
		.amdhsa_float_denorm_mode_16_64 3
		.amdhsa_dx10_clamp 1
		.amdhsa_ieee_mode 1
		.amdhsa_fp16_overflow 0
		.amdhsa_exception_fp_ieee_invalid_op 0
		.amdhsa_exception_fp_denorm_src 0
		.amdhsa_exception_fp_ieee_div_zero 0
		.amdhsa_exception_fp_ieee_overflow 0
		.amdhsa_exception_fp_ieee_underflow 0
		.amdhsa_exception_fp_ieee_inexact 0
		.amdhsa_exception_int_div_zero 0
	.end_amdhsa_kernel
	.section	.text._ZN9rocsolver6v33100L8copy_matIfPfS2_NS0_7no_maskEEEviiT0_iilT1_iilT2_13rocblas_fill_17rocblas_diagonal_,"axG",@progbits,_ZN9rocsolver6v33100L8copy_matIfPfS2_NS0_7no_maskEEEviiT0_iilT1_iilT2_13rocblas_fill_17rocblas_diagonal_,comdat
.Lfunc_end7:
	.size	_ZN9rocsolver6v33100L8copy_matIfPfS2_NS0_7no_maskEEEviiT0_iilT1_iilT2_13rocblas_fill_17rocblas_diagonal_, .Lfunc_end7-_ZN9rocsolver6v33100L8copy_matIfPfS2_NS0_7no_maskEEEviiT0_iilT1_iilT2_13rocblas_fill_17rocblas_diagonal_
                                        ; -- End function
	.set _ZN9rocsolver6v33100L8copy_matIfPfS2_NS0_7no_maskEEEviiT0_iilT1_iilT2_13rocblas_fill_17rocblas_diagonal_.num_vgpr, 6
	.set _ZN9rocsolver6v33100L8copy_matIfPfS2_NS0_7no_maskEEEviiT0_iilT1_iilT2_13rocblas_fill_17rocblas_diagonal_.num_agpr, 0
	.set _ZN9rocsolver6v33100L8copy_matIfPfS2_NS0_7no_maskEEEviiT0_iilT1_iilT2_13rocblas_fill_17rocblas_diagonal_.numbered_sgpr, 20
	.set _ZN9rocsolver6v33100L8copy_matIfPfS2_NS0_7no_maskEEEviiT0_iilT1_iilT2_13rocblas_fill_17rocblas_diagonal_.num_named_barrier, 0
	.set _ZN9rocsolver6v33100L8copy_matIfPfS2_NS0_7no_maskEEEviiT0_iilT1_iilT2_13rocblas_fill_17rocblas_diagonal_.private_seg_size, 0
	.set _ZN9rocsolver6v33100L8copy_matIfPfS2_NS0_7no_maskEEEviiT0_iilT1_iilT2_13rocblas_fill_17rocblas_diagonal_.uses_vcc, 1
	.set _ZN9rocsolver6v33100L8copy_matIfPfS2_NS0_7no_maskEEEviiT0_iilT1_iilT2_13rocblas_fill_17rocblas_diagonal_.uses_flat_scratch, 0
	.set _ZN9rocsolver6v33100L8copy_matIfPfS2_NS0_7no_maskEEEviiT0_iilT1_iilT2_13rocblas_fill_17rocblas_diagonal_.has_dyn_sized_stack, 0
	.set _ZN9rocsolver6v33100L8copy_matIfPfS2_NS0_7no_maskEEEviiT0_iilT1_iilT2_13rocblas_fill_17rocblas_diagonal_.has_recursion, 0
	.set _ZN9rocsolver6v33100L8copy_matIfPfS2_NS0_7no_maskEEEviiT0_iilT1_iilT2_13rocblas_fill_17rocblas_diagonal_.has_indirect_call, 0
	.section	.AMDGPU.csdata,"",@progbits
; Kernel info:
; codeLenInByte = 476
; TotalNumSgprs: 24
; NumVgprs: 6
; ScratchSize: 0
; MemoryBound: 0
; FloatMode: 240
; IeeeMode: 1
; LDSByteSize: 0 bytes/workgroup (compile time only)
; SGPRBlocks: 2
; VGPRBlocks: 1
; NumSGPRsForWavesPerEU: 24
; NumVGPRsForWavesPerEU: 6
; Occupancy: 10
; WaveLimiterHint : 0
; COMPUTE_PGM_RSRC2:SCRATCH_EN: 0
; COMPUTE_PGM_RSRC2:USER_SGPR: 6
; COMPUTE_PGM_RSRC2:TRAP_HANDLER: 0
; COMPUTE_PGM_RSRC2:TGID_X_EN: 1
; COMPUTE_PGM_RSRC2:TGID_Y_EN: 1
; COMPUTE_PGM_RSRC2:TGID_Z_EN: 1
; COMPUTE_PGM_RSRC2:TIDIG_COMP_CNT: 1
	.section	.text._ZN9rocsolver6v33100L12laswp_kernelIfiPfEEvT0_T1_lS3_S3_lS3_S3_PKS3_lS3_l,"axG",@progbits,_ZN9rocsolver6v33100L12laswp_kernelIfiPfEEvT0_T1_lS3_S3_lS3_S3_PKS3_lS3_l,comdat
	.globl	_ZN9rocsolver6v33100L12laswp_kernelIfiPfEEvT0_T1_lS3_S3_lS3_S3_PKS3_lS3_l ; -- Begin function _ZN9rocsolver6v33100L12laswp_kernelIfiPfEEvT0_T1_lS3_S3_lS3_S3_PKS3_lS3_l
	.p2align	8
	.type	_ZN9rocsolver6v33100L12laswp_kernelIfiPfEEvT0_T1_lS3_S3_lS3_S3_PKS3_lS3_l,@function
_ZN9rocsolver6v33100L12laswp_kernelIfiPfEEvT0_T1_lS3_S3_lS3_S3_PKS3_lS3_l: ; @_ZN9rocsolver6v33100L12laswp_kernelIfiPfEEvT0_T1_lS3_S3_lS3_S3_PKS3_lS3_l
; %bb.0:
	s_load_dword s0, s[4:5], 0x5c
	s_load_dword s1, s[4:5], 0x0
	s_waitcnt lgkmcnt(0)
	s_and_b32 s0, s0, 0xffff
	s_mul_i32 s6, s6, s0
	v_add_u32_e32 v0, s6, v0
	v_cmp_gt_i32_e32 vcc, s1, v0
	s_and_saveexec_b64 s[0:1], vcc
	s_cbranch_execz .LBB8_10
; %bb.1:
	s_load_dword s17, s[4:5], 0x40
	s_load_dwordx2 s[0:1], s[4:5], 0x28
	s_waitcnt lgkmcnt(0)
	s_cmp_gt_i32 s17, -1
	s_cbranch_scc0 .LBB8_3
; %bb.2:
	s_add_i32 s6, s1, 1
	s_mov_b32 s16, 1
	s_mov_b32 s2, s0
	s_cbranch_execz .LBB8_4
	s_branch .LBB8_5
.LBB8_3:
                                        ; implicit-def: $sgpr6
	s_mov_b32 s16, 1
	s_mov_b32 s2, s0
.LBB8_4:
	s_mov_b32 s16, -1
	s_add_i32 s6, s0, -1
	s_sub_i32 s17, 0, s17
	s_mov_b32 s2, s1
.LBB8_5:
	s_cmp_eq_u32 s2, s6
	s_cbranch_scc1 .LBB8_10
; %bb.6:
	s_load_dwordx2 s[18:19], s[4:5], 0x48
	s_load_dwordx4 s[20:23], s[4:5], 0x30
	s_load_dwordx8 s[8:15], s[4:5], 0x8
	s_ashr_i32 s1, s7, 31
	s_waitcnt lgkmcnt(0)
	s_mul_hi_u32 s3, s18, s7
	s_mul_i32 s4, s18, s1
	s_add_i32 s3, s3, s4
	s_mul_i32 s4, s19, s7
	s_add_i32 s5, s3, s4
	s_mul_i32 s4, s18, s7
	s_lshl_b64 s[4:5], s[4:5], 2
	s_add_u32 s3, s20, s4
	s_addc_u32 s18, s21, s5
	s_lshl_b64 s[4:5], s[22:23], 2
	s_add_u32 s3, s3, s4
	s_addc_u32 s4, s18, s5
	s_mul_hi_u32 s5, s14, s7
	s_mul_i32 s1, s14, s1
	s_add_i32 s1, s5, s1
	s_mul_i32 s5, s15, s7
	s_add_i32 s15, s1, s5
	s_mul_i32 s14, s14, s7
	s_lshl_b64 s[14:15], s[14:15], 2
	s_add_u32 s1, s8, s14
	s_addc_u32 s7, s9, s15
	s_lshl_b64 s[8:9], s[10:11], 2
	v_mul_lo_u32 v2, v0, s13
	s_add_u32 s5, s1, s8
	s_addc_u32 s7, s7, s9
	s_add_i32 s1, s2, -1
	s_mul_i32 s1, s12, s1
	v_add_u32_e32 v0, s1, v2
	s_sub_i32 s1, s2, s0
	s_mul_i32 s1, s17, s1
	s_mul_i32 s8, s16, s12
	s_add_i32 s0, s0, s1
	s_mul_i32 s9, s17, s16
	s_branch .LBB8_8
.LBB8_7:                                ;   in Loop: Header=BB8_8 Depth=1
	s_add_i32 s2, s2, s16
	s_add_i32 s0, s0, s9
	s_cmp_lg_u32 s6, s2
	v_add_u32_e32 v0, s8, v0
	s_cbranch_scc0 .LBB8_10
.LBB8_8:                                ; =>This Inner Loop Header: Depth=1
	s_ashr_i32 s1, s0, 31
	s_lshl_b64 s[10:11], s[0:1], 2
	s_add_u32 s1, s3, s10
	s_addc_u32 s11, s4, s11
	s_add_u32 s10, s1, -4
	s_addc_u32 s11, s11, -1
	s_load_dword s1, s[10:11], 0x0
	s_waitcnt lgkmcnt(0)
	s_cmp_eq_u32 s2, s1
	s_cbranch_scc1 .LBB8_7
; %bb.9:                                ;   in Loop: Header=BB8_8 Depth=1
	s_add_i32 s1, s1, -1
	v_ashrrev_i32_e32 v1, 31, v0
	s_mul_i32 s1, s1, s12
	v_lshlrev_b64 v[3:4], 2, v[0:1]
	v_add_u32_e32 v5, s1, v2
	v_ashrrev_i32_e32 v6, 31, v5
	v_mov_b32_e32 v1, s7
	v_add_co_u32_e32 v3, vcc, s5, v3
	v_lshlrev_b64 v[5:6], 2, v[5:6]
	v_addc_co_u32_e32 v4, vcc, v1, v4, vcc
	v_add_co_u32_e32 v5, vcc, s5, v5
	v_addc_co_u32_e32 v6, vcc, v1, v6, vcc
	global_load_dword v1, v[5:6], off
	global_load_dword v7, v[3:4], off
	s_waitcnt vmcnt(1)
	global_store_dword v[3:4], v1, off
	s_waitcnt vmcnt(1)
	global_store_dword v[5:6], v7, off
	s_branch .LBB8_7
.LBB8_10:
	s_endpgm
	.section	.rodata,"a",@progbits
	.p2align	6, 0x0
	.amdhsa_kernel _ZN9rocsolver6v33100L12laswp_kernelIfiPfEEvT0_T1_lS3_S3_lS3_S3_PKS3_lS3_l
		.amdhsa_group_segment_fixed_size 0
		.amdhsa_private_segment_fixed_size 0
		.amdhsa_kernarg_size 336
		.amdhsa_user_sgpr_count 6
		.amdhsa_user_sgpr_private_segment_buffer 1
		.amdhsa_user_sgpr_dispatch_ptr 0
		.amdhsa_user_sgpr_queue_ptr 0
		.amdhsa_user_sgpr_kernarg_segment_ptr 1
		.amdhsa_user_sgpr_dispatch_id 0
		.amdhsa_user_sgpr_flat_scratch_init 0
		.amdhsa_user_sgpr_private_segment_size 0
		.amdhsa_uses_dynamic_stack 0
		.amdhsa_system_sgpr_private_segment_wavefront_offset 0
		.amdhsa_system_sgpr_workgroup_id_x 1
		.amdhsa_system_sgpr_workgroup_id_y 1
		.amdhsa_system_sgpr_workgroup_id_z 0
		.amdhsa_system_sgpr_workgroup_info 0
		.amdhsa_system_vgpr_workitem_id 0
		.amdhsa_next_free_vgpr 8
		.amdhsa_next_free_sgpr 24
		.amdhsa_reserve_vcc 1
		.amdhsa_reserve_flat_scratch 0
		.amdhsa_float_round_mode_32 0
		.amdhsa_float_round_mode_16_64 0
		.amdhsa_float_denorm_mode_32 3
		.amdhsa_float_denorm_mode_16_64 3
		.amdhsa_dx10_clamp 1
		.amdhsa_ieee_mode 1
		.amdhsa_fp16_overflow 0
		.amdhsa_exception_fp_ieee_invalid_op 0
		.amdhsa_exception_fp_denorm_src 0
		.amdhsa_exception_fp_ieee_div_zero 0
		.amdhsa_exception_fp_ieee_overflow 0
		.amdhsa_exception_fp_ieee_underflow 0
		.amdhsa_exception_fp_ieee_inexact 0
		.amdhsa_exception_int_div_zero 0
	.end_amdhsa_kernel
	.section	.text._ZN9rocsolver6v33100L12laswp_kernelIfiPfEEvT0_T1_lS3_S3_lS3_S3_PKS3_lS3_l,"axG",@progbits,_ZN9rocsolver6v33100L12laswp_kernelIfiPfEEvT0_T1_lS3_S3_lS3_S3_PKS3_lS3_l,comdat
.Lfunc_end8:
	.size	_ZN9rocsolver6v33100L12laswp_kernelIfiPfEEvT0_T1_lS3_S3_lS3_S3_PKS3_lS3_l, .Lfunc_end8-_ZN9rocsolver6v33100L12laswp_kernelIfiPfEEvT0_T1_lS3_S3_lS3_S3_PKS3_lS3_l
                                        ; -- End function
	.set _ZN9rocsolver6v33100L12laswp_kernelIfiPfEEvT0_T1_lS3_S3_lS3_S3_PKS3_lS3_l.num_vgpr, 8
	.set _ZN9rocsolver6v33100L12laswp_kernelIfiPfEEvT0_T1_lS3_S3_lS3_S3_PKS3_lS3_l.num_agpr, 0
	.set _ZN9rocsolver6v33100L12laswp_kernelIfiPfEEvT0_T1_lS3_S3_lS3_S3_PKS3_lS3_l.numbered_sgpr, 24
	.set _ZN9rocsolver6v33100L12laswp_kernelIfiPfEEvT0_T1_lS3_S3_lS3_S3_PKS3_lS3_l.num_named_barrier, 0
	.set _ZN9rocsolver6v33100L12laswp_kernelIfiPfEEvT0_T1_lS3_S3_lS3_S3_PKS3_lS3_l.private_seg_size, 0
	.set _ZN9rocsolver6v33100L12laswp_kernelIfiPfEEvT0_T1_lS3_S3_lS3_S3_PKS3_lS3_l.uses_vcc, 1
	.set _ZN9rocsolver6v33100L12laswp_kernelIfiPfEEvT0_T1_lS3_S3_lS3_S3_PKS3_lS3_l.uses_flat_scratch, 0
	.set _ZN9rocsolver6v33100L12laswp_kernelIfiPfEEvT0_T1_lS3_S3_lS3_S3_PKS3_lS3_l.has_dyn_sized_stack, 0
	.set _ZN9rocsolver6v33100L12laswp_kernelIfiPfEEvT0_T1_lS3_S3_lS3_S3_PKS3_lS3_l.has_recursion, 0
	.set _ZN9rocsolver6v33100L12laswp_kernelIfiPfEEvT0_T1_lS3_S3_lS3_S3_PKS3_lS3_l.has_indirect_call, 0
	.section	.AMDGPU.csdata,"",@progbits
; Kernel info:
; codeLenInByte = 468
; TotalNumSgprs: 28
; NumVgprs: 8
; ScratchSize: 0
; MemoryBound: 0
; FloatMode: 240
; IeeeMode: 1
; LDSByteSize: 0 bytes/workgroup (compile time only)
; SGPRBlocks: 3
; VGPRBlocks: 1
; NumSGPRsForWavesPerEU: 28
; NumVGPRsForWavesPerEU: 8
; Occupancy: 10
; WaveLimiterHint : 1
; COMPUTE_PGM_RSRC2:SCRATCH_EN: 0
; COMPUTE_PGM_RSRC2:USER_SGPR: 6
; COMPUTE_PGM_RSRC2:TRAP_HANDLER: 0
; COMPUTE_PGM_RSRC2:TGID_X_EN: 1
; COMPUTE_PGM_RSRC2:TGID_Y_EN: 1
; COMPUTE_PGM_RSRC2:TGID_Z_EN: 0
; COMPUTE_PGM_RSRC2:TIDIG_COMP_CNT: 0
	.section	.text._ZN9rocsolver6v33100L6iota_nIdEEvPT_jS2_,"axG",@progbits,_ZN9rocsolver6v33100L6iota_nIdEEvPT_jS2_,comdat
	.globl	_ZN9rocsolver6v33100L6iota_nIdEEvPT_jS2_ ; -- Begin function _ZN9rocsolver6v33100L6iota_nIdEEvPT_jS2_
	.p2align	8
	.type	_ZN9rocsolver6v33100L6iota_nIdEEvPT_jS2_,@function
_ZN9rocsolver6v33100L6iota_nIdEEvPT_jS2_: ; @_ZN9rocsolver6v33100L6iota_nIdEEvPT_jS2_
; %bb.0:
	s_load_dword s0, s[4:5], 0x8
	s_waitcnt lgkmcnt(0)
	v_cmp_gt_u32_e32 vcc, s0, v0
	s_and_saveexec_b64 s[0:1], vcc
	s_cbranch_execz .LBB9_2
; %bb.1:
	s_load_dwordx2 s[0:1], s[4:5], 0x10
	v_cvt_f64_u32_e32 v[1:2], v0
	v_lshlrev_b32_e32 v0, 3, v0
	s_waitcnt lgkmcnt(0)
	v_add_f64 v[1:2], s[0:1], v[1:2]
	s_load_dwordx2 s[0:1], s[4:5], 0x0
	s_waitcnt lgkmcnt(0)
	global_store_dwordx2 v0, v[1:2], s[0:1]
.LBB9_2:
	s_endpgm
	.section	.rodata,"a",@progbits
	.p2align	6, 0x0
	.amdhsa_kernel _ZN9rocsolver6v33100L6iota_nIdEEvPT_jS2_
		.amdhsa_group_segment_fixed_size 0
		.amdhsa_private_segment_fixed_size 0
		.amdhsa_kernarg_size 24
		.amdhsa_user_sgpr_count 6
		.amdhsa_user_sgpr_private_segment_buffer 1
		.amdhsa_user_sgpr_dispatch_ptr 0
		.amdhsa_user_sgpr_queue_ptr 0
		.amdhsa_user_sgpr_kernarg_segment_ptr 1
		.amdhsa_user_sgpr_dispatch_id 0
		.amdhsa_user_sgpr_flat_scratch_init 0
		.amdhsa_user_sgpr_private_segment_size 0
		.amdhsa_uses_dynamic_stack 0
		.amdhsa_system_sgpr_private_segment_wavefront_offset 0
		.amdhsa_system_sgpr_workgroup_id_x 1
		.amdhsa_system_sgpr_workgroup_id_y 0
		.amdhsa_system_sgpr_workgroup_id_z 0
		.amdhsa_system_sgpr_workgroup_info 0
		.amdhsa_system_vgpr_workitem_id 0
		.amdhsa_next_free_vgpr 3
		.amdhsa_next_free_sgpr 6
		.amdhsa_reserve_vcc 1
		.amdhsa_reserve_flat_scratch 0
		.amdhsa_float_round_mode_32 0
		.amdhsa_float_round_mode_16_64 0
		.amdhsa_float_denorm_mode_32 3
		.amdhsa_float_denorm_mode_16_64 3
		.amdhsa_dx10_clamp 1
		.amdhsa_ieee_mode 1
		.amdhsa_fp16_overflow 0
		.amdhsa_exception_fp_ieee_invalid_op 0
		.amdhsa_exception_fp_denorm_src 0
		.amdhsa_exception_fp_ieee_div_zero 0
		.amdhsa_exception_fp_ieee_overflow 0
		.amdhsa_exception_fp_ieee_underflow 0
		.amdhsa_exception_fp_ieee_inexact 0
		.amdhsa_exception_int_div_zero 0
	.end_amdhsa_kernel
	.section	.text._ZN9rocsolver6v33100L6iota_nIdEEvPT_jS2_,"axG",@progbits,_ZN9rocsolver6v33100L6iota_nIdEEvPT_jS2_,comdat
.Lfunc_end9:
	.size	_ZN9rocsolver6v33100L6iota_nIdEEvPT_jS2_, .Lfunc_end9-_ZN9rocsolver6v33100L6iota_nIdEEvPT_jS2_
                                        ; -- End function
	.set _ZN9rocsolver6v33100L6iota_nIdEEvPT_jS2_.num_vgpr, 3
	.set _ZN9rocsolver6v33100L6iota_nIdEEvPT_jS2_.num_agpr, 0
	.set _ZN9rocsolver6v33100L6iota_nIdEEvPT_jS2_.numbered_sgpr, 6
	.set _ZN9rocsolver6v33100L6iota_nIdEEvPT_jS2_.num_named_barrier, 0
	.set _ZN9rocsolver6v33100L6iota_nIdEEvPT_jS2_.private_seg_size, 0
	.set _ZN9rocsolver6v33100L6iota_nIdEEvPT_jS2_.uses_vcc, 1
	.set _ZN9rocsolver6v33100L6iota_nIdEEvPT_jS2_.uses_flat_scratch, 0
	.set _ZN9rocsolver6v33100L6iota_nIdEEvPT_jS2_.has_dyn_sized_stack, 0
	.set _ZN9rocsolver6v33100L6iota_nIdEEvPT_jS2_.has_recursion, 0
	.set _ZN9rocsolver6v33100L6iota_nIdEEvPT_jS2_.has_indirect_call, 0
	.section	.AMDGPU.csdata,"",@progbits
; Kernel info:
; codeLenInByte = 76
; TotalNumSgprs: 10
; NumVgprs: 3
; ScratchSize: 0
; MemoryBound: 0
; FloatMode: 240
; IeeeMode: 1
; LDSByteSize: 0 bytes/workgroup (compile time only)
; SGPRBlocks: 1
; VGPRBlocks: 0
; NumSGPRsForWavesPerEU: 10
; NumVGPRsForWavesPerEU: 3
; Occupancy: 10
; WaveLimiterHint : 0
; COMPUTE_PGM_RSRC2:SCRATCH_EN: 0
; COMPUTE_PGM_RSRC2:USER_SGPR: 6
; COMPUTE_PGM_RSRC2:TRAP_HANDLER: 0
; COMPUTE_PGM_RSRC2:TGID_X_EN: 1
; COMPUTE_PGM_RSRC2:TGID_Y_EN: 0
; COMPUTE_PGM_RSRC2:TGID_Z_EN: 0
; COMPUTE_PGM_RSRC2:TIDIG_COMP_CNT: 0
	.section	.text._ZN9rocsolver6v33100L17getf2_permut_initIdiEEvT0_PS2_l,"axG",@progbits,_ZN9rocsolver6v33100L17getf2_permut_initIdiEEvT0_PS2_l,comdat
	.globl	_ZN9rocsolver6v33100L17getf2_permut_initIdiEEvT0_PS2_l ; -- Begin function _ZN9rocsolver6v33100L17getf2_permut_initIdiEEvT0_PS2_l
	.p2align	8
	.type	_ZN9rocsolver6v33100L17getf2_permut_initIdiEEvT0_PS2_l,@function
_ZN9rocsolver6v33100L17getf2_permut_initIdiEEvT0_PS2_l: ; @_ZN9rocsolver6v33100L17getf2_permut_initIdiEEvT0_PS2_l
; %bb.0:
	s_load_dword s0, s[4:5], 0x24
	s_load_dword s1, s[4:5], 0x0
	s_waitcnt lgkmcnt(0)
	s_and_b32 s0, s0, 0xffff
	s_mul_i32 s6, s6, s0
	v_add_u32_e32 v0, s6, v0
	v_cmp_gt_i32_e32 vcc, s1, v0
	s_and_saveexec_b64 s[0:1], vcc
	s_cbranch_execz .LBB10_2
; %bb.1:
	s_load_dwordx4 s[0:3], s[4:5], 0x8
	s_ashr_i32 s4, s7, 31
	v_ashrrev_i32_e32 v1, 31, v0
	v_lshlrev_b64 v[1:2], 2, v[0:1]
	s_waitcnt lgkmcnt(0)
	s_mul_hi_u32 s5, s2, s7
	s_mul_i32 s4, s2, s4
	s_mul_i32 s3, s3, s7
	s_add_i32 s4, s5, s4
	s_mul_i32 s2, s2, s7
	s_add_i32 s3, s4, s3
	s_lshl_b64 s[2:3], s[2:3], 2
	s_add_u32 s0, s0, s2
	s_addc_u32 s1, s1, s3
	v_mov_b32_e32 v3, s1
	v_add_co_u32_e32 v1, vcc, s0, v1
	v_addc_co_u32_e32 v2, vcc, v3, v2, vcc
	global_store_dword v[1:2], v0, off
.LBB10_2:
	s_endpgm
	.section	.rodata,"a",@progbits
	.p2align	6, 0x0
	.amdhsa_kernel _ZN9rocsolver6v33100L17getf2_permut_initIdiEEvT0_PS2_l
		.amdhsa_group_segment_fixed_size 0
		.amdhsa_private_segment_fixed_size 0
		.amdhsa_kernarg_size 280
		.amdhsa_user_sgpr_count 6
		.amdhsa_user_sgpr_private_segment_buffer 1
		.amdhsa_user_sgpr_dispatch_ptr 0
		.amdhsa_user_sgpr_queue_ptr 0
		.amdhsa_user_sgpr_kernarg_segment_ptr 1
		.amdhsa_user_sgpr_dispatch_id 0
		.amdhsa_user_sgpr_flat_scratch_init 0
		.amdhsa_user_sgpr_private_segment_size 0
		.amdhsa_uses_dynamic_stack 0
		.amdhsa_system_sgpr_private_segment_wavefront_offset 0
		.amdhsa_system_sgpr_workgroup_id_x 1
		.amdhsa_system_sgpr_workgroup_id_y 1
		.amdhsa_system_sgpr_workgroup_id_z 0
		.amdhsa_system_sgpr_workgroup_info 0
		.amdhsa_system_vgpr_workitem_id 0
		.amdhsa_next_free_vgpr 4
		.amdhsa_next_free_sgpr 8
		.amdhsa_reserve_vcc 1
		.amdhsa_reserve_flat_scratch 0
		.amdhsa_float_round_mode_32 0
		.amdhsa_float_round_mode_16_64 0
		.amdhsa_float_denorm_mode_32 3
		.amdhsa_float_denorm_mode_16_64 3
		.amdhsa_dx10_clamp 1
		.amdhsa_ieee_mode 1
		.amdhsa_fp16_overflow 0
		.amdhsa_exception_fp_ieee_invalid_op 0
		.amdhsa_exception_fp_denorm_src 0
		.amdhsa_exception_fp_ieee_div_zero 0
		.amdhsa_exception_fp_ieee_overflow 0
		.amdhsa_exception_fp_ieee_underflow 0
		.amdhsa_exception_fp_ieee_inexact 0
		.amdhsa_exception_int_div_zero 0
	.end_amdhsa_kernel
	.section	.text._ZN9rocsolver6v33100L17getf2_permut_initIdiEEvT0_PS2_l,"axG",@progbits,_ZN9rocsolver6v33100L17getf2_permut_initIdiEEvT0_PS2_l,comdat
.Lfunc_end10:
	.size	_ZN9rocsolver6v33100L17getf2_permut_initIdiEEvT0_PS2_l, .Lfunc_end10-_ZN9rocsolver6v33100L17getf2_permut_initIdiEEvT0_PS2_l
                                        ; -- End function
	.set _ZN9rocsolver6v33100L17getf2_permut_initIdiEEvT0_PS2_l.num_vgpr, 4
	.set _ZN9rocsolver6v33100L17getf2_permut_initIdiEEvT0_PS2_l.num_agpr, 0
	.set _ZN9rocsolver6v33100L17getf2_permut_initIdiEEvT0_PS2_l.numbered_sgpr, 8
	.set _ZN9rocsolver6v33100L17getf2_permut_initIdiEEvT0_PS2_l.num_named_barrier, 0
	.set _ZN9rocsolver6v33100L17getf2_permut_initIdiEEvT0_PS2_l.private_seg_size, 0
	.set _ZN9rocsolver6v33100L17getf2_permut_initIdiEEvT0_PS2_l.uses_vcc, 1
	.set _ZN9rocsolver6v33100L17getf2_permut_initIdiEEvT0_PS2_l.uses_flat_scratch, 0
	.set _ZN9rocsolver6v33100L17getf2_permut_initIdiEEvT0_PS2_l.has_dyn_sized_stack, 0
	.set _ZN9rocsolver6v33100L17getf2_permut_initIdiEEvT0_PS2_l.has_recursion, 0
	.set _ZN9rocsolver6v33100L17getf2_permut_initIdiEEvT0_PS2_l.has_indirect_call, 0
	.section	.AMDGPU.csdata,"",@progbits
; Kernel info:
; codeLenInByte = 136
; TotalNumSgprs: 12
; NumVgprs: 4
; ScratchSize: 0
; MemoryBound: 0
; FloatMode: 240
; IeeeMode: 1
; LDSByteSize: 0 bytes/workgroup (compile time only)
; SGPRBlocks: 1
; VGPRBlocks: 0
; NumSGPRsForWavesPerEU: 12
; NumVGPRsForWavesPerEU: 4
; Occupancy: 10
; WaveLimiterHint : 0
; COMPUTE_PGM_RSRC2:SCRATCH_EN: 0
; COMPUTE_PGM_RSRC2:USER_SGPR: 6
; COMPUTE_PGM_RSRC2:TRAP_HANDLER: 0
; COMPUTE_PGM_RSRC2:TGID_X_EN: 1
; COMPUTE_PGM_RSRC2:TGID_Y_EN: 1
; COMPUTE_PGM_RSRC2:TGID_Z_EN: 0
; COMPUTE_PGM_RSRC2:TIDIG_COMP_CNT: 0
	.section	.text._ZN9rocsolver6v33100L11getf2_iamaxIdiPdEEvT0_T1_lS3_lPS3_,"axG",@progbits,_ZN9rocsolver6v33100L11getf2_iamaxIdiPdEEvT0_T1_lS3_lPS3_,comdat
	.globl	_ZN9rocsolver6v33100L11getf2_iamaxIdiPdEEvT0_T1_lS3_lPS3_ ; -- Begin function _ZN9rocsolver6v33100L11getf2_iamaxIdiPdEEvT0_T1_lS3_lPS3_
	.p2align	8
	.type	_ZN9rocsolver6v33100L11getf2_iamaxIdiPdEEvT0_T1_lS3_lPS3_,@function
_ZN9rocsolver6v33100L11getf2_iamaxIdiPdEEvT0_T1_lS3_lPS3_: ; @_ZN9rocsolver6v33100L11getf2_iamaxIdiPdEEvT0_T1_lS3_lPS3_
; %bb.0:
	s_load_dword s12, s[4:5], 0x0
	s_load_dwordx4 s[8:11], s[4:5], 0x20
	v_mov_b32_e32 v1, 0
	s_mov_b32 s6, s7
	s_ashr_i32 s7, s7, 31
	s_waitcnt lgkmcnt(0)
	v_cmp_gt_i32_e32 vcc, s12, v0
	v_mov_b32_e32 v2, 0
	v_bfrev_b32_e32 v5, -2
	s_and_saveexec_b64 s[2:3], vcc
	s_cbranch_execz .LBB11_4
; %bb.1:
	s_load_dwordx4 s[16:19], s[4:5], 0x8
	s_load_dword s13, s[4:5], 0x18
	s_mul_i32 s0, s8, s7
	s_mul_hi_u32 s1, s8, s6
	s_add_i32 s0, s1, s0
	s_mul_i32 s1, s9, s6
	s_add_i32 s1, s0, s1
	s_mul_i32 s0, s8, s6
	s_lshl_b64 s[0:1], s[0:1], 3
	s_waitcnt lgkmcnt(0)
	s_add_u32 s4, s16, s0
	s_addc_u32 s5, s17, s1
	s_lshl_b64 s[0:1], s[18:19], 3
	v_mul_lo_u32 v3, v0, s13
	s_add_u32 s8, s4, s0
	s_addc_u32 s0, s5, s1
	v_mov_b32_e32 v1, 0
	s_lshl_b32 s9, s13, 10
	v_mov_b32_e32 v2, 0
	v_bfrev_b32_e32 v5, -2
	s_mov_b64 s[4:5], 0
	v_mov_b32_e32 v6, s0
	s_brev_b32 s13, -2
	v_mov_b32_e32 v7, v0
.LBB11_2:                               ; =>This Inner Loop Header: Depth=1
	v_ashrrev_i32_e32 v4, 31, v3
	v_lshlrev_b64 v[8:9], 3, v[3:4]
	v_add_u32_e32 v4, 1, v7
	v_add_co_u32_e32 v8, vcc, s8, v8
	v_addc_co_u32_e32 v9, vcc, v6, v9, vcc
	global_load_dwordx2 v[8:9], v[8:9], off
	v_cmp_eq_u32_e32 vcc, s13, v5
	v_add_u32_e32 v7, 0x400, v7
	v_cmp_le_i32_e64 s[0:1], s12, v7
	v_add_u32_e32 v3, s9, v3
	s_waitcnt vmcnt(0)
	v_cmp_lt_f64_e64 s[14:15], v[1:2], |v[8:9]|
	v_and_b32_e32 v9, 0x7fffffff, v9
	s_or_b64 vcc, s[14:15], vcc
	v_cndmask_b32_e32 v2, v2, v9, vcc
	v_cndmask_b32_e32 v1, v1, v8, vcc
	s_or_b64 s[4:5], s[0:1], s[4:5]
	v_cndmask_b32_e32 v5, v5, v4, vcc
	s_andn2_b64 exec, exec, s[4:5]
	s_cbranch_execnz .LBB11_2
; %bb.3:
	s_or_b64 exec, exec, s[4:5]
.LBB11_4:
	s_or_b64 exec, exec, s[2:3]
	v_lshlrev_b32_e32 v6, 3, v0
	v_lshlrev_b32_e32 v3, 2, v0
	s_cmp_lt_i32 s12, 2
	ds_write_b64 v6, v[1:2]
	ds_write_b32 v3, v5 offset:8192
	s_waitcnt lgkmcnt(0)
	s_barrier
	s_cbranch_scc0 .LBB11_7
; %bb.5:
	v_cmp_eq_u32_e32 vcc, 0, v0
	s_and_saveexec_b64 s[0:1], vcc
	s_cbranch_execnz .LBB11_53
.LBB11_6:
	s_endpgm
.LBB11_7:
	s_movk_i32 s0, 0x200
	v_or_b32_e32 v7, 0x2000, v3
	v_cmp_gt_u32_e32 vcc, s0, v0
	s_and_saveexec_b64 s[2:3], vcc
	s_cbranch_execz .LBB11_13
; %bb.8:
	ds_read_b64 v[3:4], v6 offset:4096
	ds_read_b32 v8, v7 offset:2048
	s_waitcnt lgkmcnt(1)
	v_cmp_lt_f64_e64 s[4:5], v[1:2], v[3:4]
	v_cmp_nlt_f64_e32 vcc, v[1:2], v[3:4]
	s_and_saveexec_b64 s[8:9], vcc
	s_cbranch_execz .LBB11_10
; %bb.9:
	v_cmp_eq_f64_e32 vcc, v[1:2], v[3:4]
	s_waitcnt lgkmcnt(0)
	v_cmp_gt_i32_e64 s[0:1], v5, v8
	s_andn2_b64 s[4:5], s[4:5], exec
	s_and_b64 s[0:1], vcc, s[0:1]
	s_and_b64 s[0:1], s[0:1], exec
	s_or_b64 s[4:5], s[4:5], s[0:1]
.LBB11_10:
	s_or_b64 exec, exec, s[8:9]
	s_and_saveexec_b64 s[0:1], s[4:5]
	s_cbranch_execz .LBB11_12
; %bb.11:
	v_mov_b32_e32 v1, v3
	s_waitcnt lgkmcnt(0)
	v_mov_b32_e32 v5, v8
	v_mov_b32_e32 v2, v4
	ds_write_b64 v6, v[3:4]
	ds_write_b32 v7, v8
.LBB11_12:
	s_or_b64 exec, exec, s[0:1]
.LBB11_13:
	s_or_b64 exec, exec, s[2:3]
	s_movk_i32 s0, 0x100
	v_cmp_gt_u32_e32 vcc, s0, v0
	s_waitcnt lgkmcnt(0)
	s_barrier
	s_and_saveexec_b64 s[2:3], vcc
	s_cbranch_execz .LBB11_19
; %bb.14:
	ds_read_b64 v[3:4], v6 offset:2048
	ds_read_b32 v8, v7 offset:1024
	s_waitcnt lgkmcnt(1)
	v_cmp_lt_f64_e64 s[4:5], v[1:2], v[3:4]
	v_cmp_nlt_f64_e32 vcc, v[1:2], v[3:4]
	s_and_saveexec_b64 s[8:9], vcc
	s_cbranch_execz .LBB11_16
; %bb.15:
	v_cmp_eq_f64_e32 vcc, v[1:2], v[3:4]
	s_waitcnt lgkmcnt(0)
	v_cmp_gt_i32_e64 s[0:1], v5, v8
	s_andn2_b64 s[4:5], s[4:5], exec
	s_and_b64 s[0:1], vcc, s[0:1]
	s_and_b64 s[0:1], s[0:1], exec
	s_or_b64 s[4:5], s[4:5], s[0:1]
.LBB11_16:
	s_or_b64 exec, exec, s[8:9]
	s_and_saveexec_b64 s[0:1], s[4:5]
	s_cbranch_execz .LBB11_18
; %bb.17:
	v_mov_b32_e32 v1, v3
	s_waitcnt lgkmcnt(0)
	v_mov_b32_e32 v5, v8
	v_mov_b32_e32 v2, v4
	ds_write_b64 v6, v[3:4]
	ds_write_b32 v7, v8
.LBB11_18:
	s_or_b64 exec, exec, s[0:1]
.LBB11_19:
	s_or_b64 exec, exec, s[2:3]
	s_movk_i32 s0, 0x80
	v_cmp_gt_u32_e32 vcc, s0, v0
	s_waitcnt lgkmcnt(0)
	s_barrier
	s_and_saveexec_b64 s[2:3], vcc
	s_cbranch_execz .LBB11_25
; %bb.20:
	ds_read_b64 v[3:4], v6 offset:1024
	ds_read_b32 v8, v7 offset:512
	s_waitcnt lgkmcnt(1)
	v_cmp_lt_f64_e64 s[4:5], v[1:2], v[3:4]
	v_cmp_nlt_f64_e32 vcc, v[1:2], v[3:4]
	s_and_saveexec_b64 s[8:9], vcc
	s_cbranch_execz .LBB11_22
; %bb.21:
	v_cmp_eq_f64_e32 vcc, v[1:2], v[3:4]
	s_waitcnt lgkmcnt(0)
	v_cmp_gt_i32_e64 s[0:1], v5, v8
	s_andn2_b64 s[4:5], s[4:5], exec
	s_and_b64 s[0:1], vcc, s[0:1]
	s_and_b64 s[0:1], s[0:1], exec
	s_or_b64 s[4:5], s[4:5], s[0:1]
.LBB11_22:
	s_or_b64 exec, exec, s[8:9]
	s_and_saveexec_b64 s[0:1], s[4:5]
	s_cbranch_execz .LBB11_24
; %bb.23:
	v_mov_b32_e32 v1, v3
	s_waitcnt lgkmcnt(0)
	v_mov_b32_e32 v5, v8
	v_mov_b32_e32 v2, v4
	ds_write_b64 v6, v[3:4]
	ds_write_b32 v7, v8
.LBB11_24:
	s_or_b64 exec, exec, s[0:1]
.LBB11_25:
	s_or_b64 exec, exec, s[2:3]
	v_cmp_gt_u32_e32 vcc, 64, v0
	s_waitcnt lgkmcnt(0)
	s_barrier
	s_and_saveexec_b64 s[4:5], vcc
	s_cbranch_execz .LBB11_52
; %bb.26:
	ds_read_b64 v[3:4], v6 offset:512
	ds_read_b32 v8, v7 offset:256
	s_waitcnt lgkmcnt(1)
	v_cmp_lt_f64_e64 s[2:3], v[1:2], v[3:4]
	v_cmp_nlt_f64_e32 vcc, v[1:2], v[3:4]
	s_and_saveexec_b64 s[8:9], vcc
	s_cbranch_execz .LBB11_28
; %bb.27:
	v_cmp_eq_f64_e32 vcc, v[1:2], v[3:4]
	s_waitcnt lgkmcnt(0)
	v_cmp_gt_i32_e64 s[0:1], v5, v8
	s_andn2_b64 s[2:3], s[2:3], exec
	s_and_b64 s[0:1], vcc, s[0:1]
	s_and_b64 s[0:1], s[0:1], exec
	s_or_b64 s[2:3], s[2:3], s[0:1]
.LBB11_28:
	s_or_b64 exec, exec, s[8:9]
	s_and_saveexec_b64 s[0:1], s[2:3]
	s_cbranch_execz .LBB11_30
; %bb.29:
	v_mov_b32_e32 v1, v3
	v_mov_b32_e32 v2, v4
	s_waitcnt lgkmcnt(0)
	v_mov_b32_e32 v5, v8
	ds_write_b64 v6, v[3:4]
	ds_write_b32 v7, v8
.LBB11_30:
	s_or_b64 exec, exec, s[0:1]
	ds_read_b64 v[3:4], v6 offset:256
	s_waitcnt lgkmcnt(1)
	ds_read_b32 v8, v7 offset:128
	s_waitcnt lgkmcnt(1)
	v_cmp_lt_f64_e64 s[2:3], v[1:2], v[3:4]
	v_cmp_nlt_f64_e32 vcc, v[1:2], v[3:4]
	s_and_saveexec_b64 s[8:9], vcc
	s_cbranch_execz .LBB11_32
; %bb.31:
	v_cmp_eq_f64_e32 vcc, v[1:2], v[3:4]
	s_waitcnt lgkmcnt(0)
	v_cmp_gt_i32_e64 s[0:1], v5, v8
	s_andn2_b64 s[2:3], s[2:3], exec
	s_and_b64 s[0:1], vcc, s[0:1]
	s_and_b64 s[0:1], s[0:1], exec
	s_or_b64 s[2:3], s[2:3], s[0:1]
.LBB11_32:
	s_or_b64 exec, exec, s[8:9]
	s_and_saveexec_b64 s[0:1], s[2:3]
	s_cbranch_execz .LBB11_34
; %bb.33:
	v_mov_b32_e32 v1, v3
	v_mov_b32_e32 v2, v4
	s_waitcnt lgkmcnt(0)
	v_mov_b32_e32 v5, v8
	ds_write_b64 v6, v[3:4]
	ds_write_b32 v7, v8
.LBB11_34:
	s_or_b64 exec, exec, s[0:1]
	ds_read_b64 v[3:4], v6 offset:128
	s_waitcnt lgkmcnt(1)
	;; [unrolled: 29-line block ×6, first 2 shown]
	ds_read_b32 v8, v7 offset:4
	s_waitcnt lgkmcnt(1)
	v_cmp_eq_f64_e32 vcc, v[1:2], v[3:4]
	v_cmp_lt_f64_e64 s[0:1], v[1:2], v[3:4]
	s_waitcnt lgkmcnt(0)
	v_cmp_gt_i32_e64 s[2:3], v5, v8
	s_and_b64 s[2:3], vcc, s[2:3]
	s_or_b64 s[0:1], s[0:1], s[2:3]
	s_and_b64 exec, exec, s[0:1]
	s_cbranch_execz .LBB11_52
; %bb.51:
	ds_write_b64 v6, v[3:4]
	ds_write_b32 v7, v8
.LBB11_52:
	s_or_b64 exec, exec, s[4:5]
	v_cmp_eq_u32_e32 vcc, 0, v0
	s_and_saveexec_b64 s[0:1], vcc
	s_cbranch_execz .LBB11_6
.LBB11_53:
	v_mov_b32_e32 v0, 0
	ds_read_b32 v1, v0 offset:8192
	s_lshl_b64 s[0:1], s[6:7], 2
	s_add_u32 s0, s10, s0
	s_addc_u32 s1, s11, s1
	s_waitcnt lgkmcnt(0)
	global_store_dword v0, v1, s[0:1]
	s_endpgm
	.section	.rodata,"a",@progbits
	.p2align	6, 0x0
	.amdhsa_kernel _ZN9rocsolver6v33100L11getf2_iamaxIdiPdEEvT0_T1_lS3_lPS3_
		.amdhsa_group_segment_fixed_size 12288
		.amdhsa_private_segment_fixed_size 0
		.amdhsa_kernarg_size 48
		.amdhsa_user_sgpr_count 6
		.amdhsa_user_sgpr_private_segment_buffer 1
		.amdhsa_user_sgpr_dispatch_ptr 0
		.amdhsa_user_sgpr_queue_ptr 0
		.amdhsa_user_sgpr_kernarg_segment_ptr 1
		.amdhsa_user_sgpr_dispatch_id 0
		.amdhsa_user_sgpr_flat_scratch_init 0
		.amdhsa_user_sgpr_private_segment_size 0
		.amdhsa_uses_dynamic_stack 0
		.amdhsa_system_sgpr_private_segment_wavefront_offset 0
		.amdhsa_system_sgpr_workgroup_id_x 1
		.amdhsa_system_sgpr_workgroup_id_y 1
		.amdhsa_system_sgpr_workgroup_id_z 0
		.amdhsa_system_sgpr_workgroup_info 0
		.amdhsa_system_vgpr_workitem_id 0
		.amdhsa_next_free_vgpr 29
		.amdhsa_next_free_sgpr 61
		.amdhsa_reserve_vcc 1
		.amdhsa_reserve_flat_scratch 0
		.amdhsa_float_round_mode_32 0
		.amdhsa_float_round_mode_16_64 0
		.amdhsa_float_denorm_mode_32 3
		.amdhsa_float_denorm_mode_16_64 3
		.amdhsa_dx10_clamp 1
		.amdhsa_ieee_mode 1
		.amdhsa_fp16_overflow 0
		.amdhsa_exception_fp_ieee_invalid_op 0
		.amdhsa_exception_fp_denorm_src 0
		.amdhsa_exception_fp_ieee_div_zero 0
		.amdhsa_exception_fp_ieee_overflow 0
		.amdhsa_exception_fp_ieee_underflow 0
		.amdhsa_exception_fp_ieee_inexact 0
		.amdhsa_exception_int_div_zero 0
	.end_amdhsa_kernel
	.section	.text._ZN9rocsolver6v33100L11getf2_iamaxIdiPdEEvT0_T1_lS3_lPS3_,"axG",@progbits,_ZN9rocsolver6v33100L11getf2_iamaxIdiPdEEvT0_T1_lS3_lPS3_,comdat
.Lfunc_end11:
	.size	_ZN9rocsolver6v33100L11getf2_iamaxIdiPdEEvT0_T1_lS3_lPS3_, .Lfunc_end11-_ZN9rocsolver6v33100L11getf2_iamaxIdiPdEEvT0_T1_lS3_lPS3_
                                        ; -- End function
	.set _ZN9rocsolver6v33100L11getf2_iamaxIdiPdEEvT0_T1_lS3_lPS3_.num_vgpr, 10
	.set _ZN9rocsolver6v33100L11getf2_iamaxIdiPdEEvT0_T1_lS3_lPS3_.num_agpr, 0
	.set _ZN9rocsolver6v33100L11getf2_iamaxIdiPdEEvT0_T1_lS3_lPS3_.numbered_sgpr, 20
	.set _ZN9rocsolver6v33100L11getf2_iamaxIdiPdEEvT0_T1_lS3_lPS3_.num_named_barrier, 0
	.set _ZN9rocsolver6v33100L11getf2_iamaxIdiPdEEvT0_T1_lS3_lPS3_.private_seg_size, 0
	.set _ZN9rocsolver6v33100L11getf2_iamaxIdiPdEEvT0_T1_lS3_lPS3_.uses_vcc, 1
	.set _ZN9rocsolver6v33100L11getf2_iamaxIdiPdEEvT0_T1_lS3_lPS3_.uses_flat_scratch, 0
	.set _ZN9rocsolver6v33100L11getf2_iamaxIdiPdEEvT0_T1_lS3_lPS3_.has_dyn_sized_stack, 0
	.set _ZN9rocsolver6v33100L11getf2_iamaxIdiPdEEvT0_T1_lS3_lPS3_.has_recursion, 0
	.set _ZN9rocsolver6v33100L11getf2_iamaxIdiPdEEvT0_T1_lS3_lPS3_.has_indirect_call, 0
	.section	.AMDGPU.csdata,"",@progbits
; Kernel info:
; codeLenInByte = 1668
; TotalNumSgprs: 24
; NumVgprs: 10
; ScratchSize: 0
; MemoryBound: 0
; FloatMode: 240
; IeeeMode: 1
; LDSByteSize: 12288 bytes/workgroup (compile time only)
; SGPRBlocks: 8
; VGPRBlocks: 7
; NumSGPRsForWavesPerEU: 65
; NumVGPRsForWavesPerEU: 29
; Occupancy: 8
; WaveLimiterHint : 0
; COMPUTE_PGM_RSRC2:SCRATCH_EN: 0
; COMPUTE_PGM_RSRC2:USER_SGPR: 6
; COMPUTE_PGM_RSRC2:TRAP_HANDLER: 0
; COMPUTE_PGM_RSRC2:TGID_X_EN: 1
; COMPUTE_PGM_RSRC2:TGID_Y_EN: 1
; COMPUTE_PGM_RSRC2:TGID_Z_EN: 0
; COMPUTE_PGM_RSRC2:TIDIG_COMP_CNT: 0
	.section	.text._ZN9rocsolver6v33100L23getf2_check_singularityIdiiPdEEvT0_S3_T2_lS3_S3_lPS3_llPT_S5_PT1_S3_S5_l,"axG",@progbits,_ZN9rocsolver6v33100L23getf2_check_singularityIdiiPdEEvT0_S3_T2_lS3_S3_lPS3_llPT_S5_PT1_S3_S5_l,comdat
	.globl	_ZN9rocsolver6v33100L23getf2_check_singularityIdiiPdEEvT0_S3_T2_lS3_S3_lPS3_llPT_S5_PT1_S3_S5_l ; -- Begin function _ZN9rocsolver6v33100L23getf2_check_singularityIdiiPdEEvT0_S3_T2_lS3_S3_lPS3_llPT_S5_PT1_S3_S5_l
	.p2align	8
	.type	_ZN9rocsolver6v33100L23getf2_check_singularityIdiiPdEEvT0_S3_T2_lS3_S3_lPS3_llPT_S5_PT1_S3_S5_l,@function
_ZN9rocsolver6v33100L23getf2_check_singularityIdiiPdEEvT0_S3_T2_lS3_S3_lPS3_llPT_S5_PT1_S3_S5_l: ; @_ZN9rocsolver6v33100L23getf2_check_singularityIdiiPdEEvT0_S3_T2_lS3_S3_lPS3_llPT_S5_PT1_S3_S5_l
; %bb.0:
	s_load_dword s0, s[4:5], 0x7c
	s_load_dwordx2 s[24:25], s[4:5], 0x0
	s_waitcnt lgkmcnt(0)
	s_and_b32 s0, s0, 0xffff
	s_mul_i32 s6, s6, s0
	v_add_u32_e32 v0, s6, v0
	v_cmp_gt_i32_e32 vcc, s24, v0
	s_and_saveexec_b64 s[0:1], vcc
	s_cbranch_execz .LBB12_8
; %bb.1:
	s_load_dwordx8 s[8:15], s[4:5], 0x20
	s_load_dwordx4 s[16:19], s[4:5], 0x8
	s_load_dwordx2 s[28:29], s[4:5], 0x18
	s_load_dwordx4 s[0:3], s[4:5], 0x40
	s_ashr_i32 s27, s7, 31
	s_mov_b32 s26, s7
	s_waitcnt lgkmcnt(0)
	s_mul_hi_u32 s6, s8, s7
	s_mul_i32 s7, s8, s27
	s_add_i32 s6, s6, s7
	s_mul_i32 s7, s9, s26
	s_add_i32 s7, s6, s7
	s_mul_i32 s6, s8, s26
	s_lshl_b64 s[6:7], s[6:7], 3
	s_add_u32 s8, s16, s6
	s_addc_u32 s9, s17, s7
	s_lshl_b64 s[6:7], s[18:19], 3
	s_add_u32 s24, s8, s6
	s_addc_u32 s30, s9, s7
	;; [unrolled: 3-line block ×3, first 2 shown]
	s_load_dword s2, s[2:3], 0x0
	s_waitcnt lgkmcnt(0)
	s_add_i32 s3, s2, s25
	s_add_i32 s16, s3, -1
	s_cmp_eq_u32 s16, s25
	s_cselect_b64 s[8:9], -1, 0
	s_and_b64 vcc, exec, s[8:9]
	s_cbranch_vccnz .LBB12_3
; %bb.2:
	v_mul_lo_u32 v3, v0, s29
	s_mul_i32 s17, s28, s25
	s_mul_i32 s16, s16, s28
	v_mov_b32_e32 v4, s30
	v_add_u32_e32 v1, s17, v3
	v_ashrrev_i32_e32 v2, 31, v1
	v_lshlrev_b64 v[1:2], 3, v[1:2]
	v_add_u32_e32 v3, s16, v3
	v_add_co_u32_e32 v1, vcc, s24, v1
	v_addc_co_u32_e32 v2, vcc, v4, v2, vcc
	v_ashrrev_i32_e32 v4, 31, v3
	v_lshlrev_b64 v[3:4], 3, v[3:4]
	v_mov_b32_e32 v5, s30
	v_add_co_u32_e32 v3, vcc, s24, v3
	v_addc_co_u32_e32 v4, vcc, v5, v4, vcc
	global_load_dwordx2 v[5:6], v[3:4], off
	global_load_dwordx2 v[7:8], v[1:2], off
	s_waitcnt vmcnt(1)
	global_store_dwordx2 v[1:2], v[5:6], off
	s_waitcnt vmcnt(1)
	global_store_dwordx2 v[3:4], v[7:8], off
.LBB12_3:
	v_cmp_eq_u32_e32 vcc, s25, v0
	s_and_b64 exec, exec, vcc
	s_cbranch_execz .LBB12_8
; %bb.4:
	s_load_dwordx4 s[16:19], s[4:5], 0x50
	s_waitcnt lgkmcnt(0)
	s_load_dword s18, s[4:5], 0x58
	s_load_dwordx4 s[20:23], s[4:5], 0x60
	s_mul_i32 s4, s14, s27
	s_mul_hi_u32 s5, s14, s26
	s_add_i32 s4, s5, s4
	s_mul_i32 s5, s15, s26
	s_add_i32 s5, s4, s5
	s_mul_i32 s4, s14, s26
	s_lshl_b64 s[4:5], s[4:5], 2
	s_add_u32 s10, s10, s4
	s_addc_u32 s11, s11, s5
	s_lshl_b64 s[4:5], s[12:13], 2
	s_add_u32 s10, s10, s4
	s_addc_u32 s11, s11, s5
	s_ashr_i32 s5, s25, 31
	s_mov_b32 s4, s25
	s_waitcnt lgkmcnt(0)
	s_add_i32 s3, s3, s18
	s_lshl_b64 s[4:5], s[4:5], 2
	s_add_u32 s10, s10, s4
	s_addc_u32 s11, s11, s5
	v_mov_b32_e32 v0, 0
	v_mov_b32_e32 v1, s3
	s_cmp_eq_u64 s[20:21], 0
	global_store_dword v0, v1, s[10:11]
	s_cselect_b64 s[10:11], -1, 0
	s_or_b64 s[8:9], s[10:11], s[8:9]
	s_and_b64 vcc, exec, s[8:9]
	s_cbranch_vccnz .LBB12_6
; %bb.5:
	s_mul_i32 s3, s22, s27
	s_mul_hi_u32 s8, s22, s26
	s_add_i32 s3, s8, s3
	s_mul_i32 s8, s23, s26
	s_add_i32 s9, s3, s8
	s_mul_i32 s8, s22, s26
	s_lshl_b64 s[8:9], s[8:9], 2
	s_add_u32 s3, s20, s8
	s_addc_u32 s8, s21, s9
	s_add_u32 s4, s3, s4
	s_addc_u32 s5, s8, s5
	s_ashr_i32 s3, s2, 31
	s_lshl_b64 s[2:3], s[2:3], 2
	s_add_u32 s2, s4, s2
	s_addc_u32 s3, s5, s3
	global_load_dword v1, v0, s[2:3] offset:-4
	global_load_dword v2, v0, s[4:5]
	s_waitcnt vmcnt(1)
	global_store_dword v0, v1, s[4:5]
	s_waitcnt vmcnt(1)
	global_store_dword v0, v2, s[2:3] offset:-4
.LBB12_6:
	s_add_i32 s2, s29, s28
	s_mul_i32 s2, s2, s25
	s_ashr_i32 s3, s2, 31
	s_lshl_b64 s[2:3], s[2:3], 3
	s_add_u32 s2, s24, s2
	s_addc_u32 s3, s30, s3
	global_load_dwordx2 v[0:1], v0, s[2:3]
	s_waitcnt vmcnt(0)
	v_cmp_neq_f64_e32 vcc, 0, v[0:1]
	s_cbranch_vccz .LBB12_9
; %bb.7:
	v_div_scale_f64 v[2:3], s[2:3], v[0:1], v[0:1], 1.0
	s_lshl_b64 s[2:3], s[26:27], 3
	s_add_u32 s2, s0, s2
	s_addc_u32 s3, s1, s3
	v_rcp_f64_e32 v[4:5], v[2:3]
	v_fma_f64 v[6:7], -v[2:3], v[4:5], 1.0
	v_fma_f64 v[4:5], v[4:5], v[6:7], v[4:5]
	v_div_scale_f64 v[6:7], vcc, 1.0, v[0:1], 1.0
	v_fma_f64 v[8:9], -v[2:3], v[4:5], 1.0
	v_fma_f64 v[4:5], v[4:5], v[8:9], v[4:5]
	v_mul_f64 v[8:9], v[6:7], v[4:5]
	v_fma_f64 v[2:3], -v[2:3], v[8:9], v[6:7]
	v_div_fmas_f64 v[2:3], v[2:3], v[4:5], v[8:9]
	v_div_fixup_f64 v[0:1], v[2:3], v[0:1], 1.0
	v_mov_b32_e32 v2, 0
	global_store_dwordx2 v2, v[0:1], s[2:3]
	s_cbranch_execz .LBB12_10
.LBB12_8:
	s_endpgm
.LBB12_9:
.LBB12_10:
	s_lshl_b64 s[2:3], s[26:27], 3
	s_add_u32 s2, s0, s2
	s_addc_u32 s3, s1, s3
	s_add_u32 s0, s16, s6
	v_mov_b32_e32 v0, 0
	s_addc_u32 s1, s17, s7
	global_load_dword v2, v0, s[0:1]
	v_mov_b32_e32 v1, 0x3ff00000
	global_store_dwordx2 v0, v[0:1], s[2:3]
	s_waitcnt vmcnt(1)
	v_cmp_ne_u32_e32 vcc, 0, v2
	s_cbranch_vccnz .LBB12_8
; %bb.11:
	s_add_i32 s2, s25, s18
	s_add_i32 s2, s2, 1
	v_mov_b32_e32 v1, s2
	global_store_dword v0, v1, s[0:1]
	s_endpgm
	.section	.rodata,"a",@progbits
	.p2align	6, 0x0
	.amdhsa_kernel _ZN9rocsolver6v33100L23getf2_check_singularityIdiiPdEEvT0_S3_T2_lS3_S3_lPS3_llPT_S5_PT1_S3_S5_l
		.amdhsa_group_segment_fixed_size 0
		.amdhsa_private_segment_fixed_size 0
		.amdhsa_kernarg_size 368
		.amdhsa_user_sgpr_count 6
		.amdhsa_user_sgpr_private_segment_buffer 1
		.amdhsa_user_sgpr_dispatch_ptr 0
		.amdhsa_user_sgpr_queue_ptr 0
		.amdhsa_user_sgpr_kernarg_segment_ptr 1
		.amdhsa_user_sgpr_dispatch_id 0
		.amdhsa_user_sgpr_flat_scratch_init 0
		.amdhsa_user_sgpr_private_segment_size 0
		.amdhsa_uses_dynamic_stack 0
		.amdhsa_system_sgpr_private_segment_wavefront_offset 0
		.amdhsa_system_sgpr_workgroup_id_x 1
		.amdhsa_system_sgpr_workgroup_id_y 1
		.amdhsa_system_sgpr_workgroup_id_z 0
		.amdhsa_system_sgpr_workgroup_info 0
		.amdhsa_system_vgpr_workitem_id 0
		.amdhsa_next_free_vgpr 10
		.amdhsa_next_free_sgpr 31
		.amdhsa_reserve_vcc 1
		.amdhsa_reserve_flat_scratch 0
		.amdhsa_float_round_mode_32 0
		.amdhsa_float_round_mode_16_64 0
		.amdhsa_float_denorm_mode_32 3
		.amdhsa_float_denorm_mode_16_64 3
		.amdhsa_dx10_clamp 1
		.amdhsa_ieee_mode 1
		.amdhsa_fp16_overflow 0
		.amdhsa_exception_fp_ieee_invalid_op 0
		.amdhsa_exception_fp_denorm_src 0
		.amdhsa_exception_fp_ieee_div_zero 0
		.amdhsa_exception_fp_ieee_overflow 0
		.amdhsa_exception_fp_ieee_underflow 0
		.amdhsa_exception_fp_ieee_inexact 0
		.amdhsa_exception_int_div_zero 0
	.end_amdhsa_kernel
	.section	.text._ZN9rocsolver6v33100L23getf2_check_singularityIdiiPdEEvT0_S3_T2_lS3_S3_lPS3_llPT_S5_PT1_S3_S5_l,"axG",@progbits,_ZN9rocsolver6v33100L23getf2_check_singularityIdiiPdEEvT0_S3_T2_lS3_S3_lPS3_llPT_S5_PT1_S3_S5_l,comdat
.Lfunc_end12:
	.size	_ZN9rocsolver6v33100L23getf2_check_singularityIdiiPdEEvT0_S3_T2_lS3_S3_lPS3_llPT_S5_PT1_S3_S5_l, .Lfunc_end12-_ZN9rocsolver6v33100L23getf2_check_singularityIdiiPdEEvT0_S3_T2_lS3_S3_lPS3_llPT_S5_PT1_S3_S5_l
                                        ; -- End function
	.set _ZN9rocsolver6v33100L23getf2_check_singularityIdiiPdEEvT0_S3_T2_lS3_S3_lPS3_llPT_S5_PT1_S3_S5_l.num_vgpr, 10
	.set _ZN9rocsolver6v33100L23getf2_check_singularityIdiiPdEEvT0_S3_T2_lS3_S3_lPS3_llPT_S5_PT1_S3_S5_l.num_agpr, 0
	.set _ZN9rocsolver6v33100L23getf2_check_singularityIdiiPdEEvT0_S3_T2_lS3_S3_lPS3_llPT_S5_PT1_S3_S5_l.numbered_sgpr, 31
	.set _ZN9rocsolver6v33100L23getf2_check_singularityIdiiPdEEvT0_S3_T2_lS3_S3_lPS3_llPT_S5_PT1_S3_S5_l.num_named_barrier, 0
	.set _ZN9rocsolver6v33100L23getf2_check_singularityIdiiPdEEvT0_S3_T2_lS3_S3_lPS3_llPT_S5_PT1_S3_S5_l.private_seg_size, 0
	.set _ZN9rocsolver6v33100L23getf2_check_singularityIdiiPdEEvT0_S3_T2_lS3_S3_lPS3_llPT_S5_PT1_S3_S5_l.uses_vcc, 1
	.set _ZN9rocsolver6v33100L23getf2_check_singularityIdiiPdEEvT0_S3_T2_lS3_S3_lPS3_llPT_S5_PT1_S3_S5_l.uses_flat_scratch, 0
	.set _ZN9rocsolver6v33100L23getf2_check_singularityIdiiPdEEvT0_S3_T2_lS3_S3_lPS3_llPT_S5_PT1_S3_S5_l.has_dyn_sized_stack, 0
	.set _ZN9rocsolver6v33100L23getf2_check_singularityIdiiPdEEvT0_S3_T2_lS3_S3_lPS3_llPT_S5_PT1_S3_S5_l.has_recursion, 0
	.set _ZN9rocsolver6v33100L23getf2_check_singularityIdiiPdEEvT0_S3_T2_lS3_S3_lPS3_llPT_S5_PT1_S3_S5_l.has_indirect_call, 0
	.section	.AMDGPU.csdata,"",@progbits
; Kernel info:
; codeLenInByte = 796
; TotalNumSgprs: 35
; NumVgprs: 10
; ScratchSize: 0
; MemoryBound: 0
; FloatMode: 240
; IeeeMode: 1
; LDSByteSize: 0 bytes/workgroup (compile time only)
; SGPRBlocks: 4
; VGPRBlocks: 2
; NumSGPRsForWavesPerEU: 35
; NumVGPRsForWavesPerEU: 10
; Occupancy: 10
; WaveLimiterHint : 1
; COMPUTE_PGM_RSRC2:SCRATCH_EN: 0
; COMPUTE_PGM_RSRC2:USER_SGPR: 6
; COMPUTE_PGM_RSRC2:TRAP_HANDLER: 0
; COMPUTE_PGM_RSRC2:TGID_X_EN: 1
; COMPUTE_PGM_RSRC2:TGID_Y_EN: 1
; COMPUTE_PGM_RSRC2:TGID_Z_EN: 0
; COMPUTE_PGM_RSRC2:TIDIG_COMP_CNT: 0
	.section	.text._ZN9rocsolver6v33100L28getf2_npvt_check_singularityIdiiPdEEvT0_T2_lS3_S3_lPT_PT1_S3_,"axG",@progbits,_ZN9rocsolver6v33100L28getf2_npvt_check_singularityIdiiPdEEvT0_T2_lS3_S3_lPT_PT1_S3_,comdat
	.globl	_ZN9rocsolver6v33100L28getf2_npvt_check_singularityIdiiPdEEvT0_T2_lS3_S3_lPT_PT1_S3_ ; -- Begin function _ZN9rocsolver6v33100L28getf2_npvt_check_singularityIdiiPdEEvT0_T2_lS3_S3_lPT_PT1_S3_
	.p2align	8
	.type	_ZN9rocsolver6v33100L28getf2_npvt_check_singularityIdiiPdEEvT0_T2_lS3_S3_lPT_PT1_S3_,@function
_ZN9rocsolver6v33100L28getf2_npvt_check_singularityIdiiPdEEvT0_T2_lS3_S3_lPT_PT1_S3_: ; @_ZN9rocsolver6v33100L28getf2_npvt_check_singularityIdiiPdEEvT0_T2_lS3_S3_lPT_PT1_S3_
; %bb.0:
	s_load_dwordx4 s[0:3], s[4:5], 0x20
	s_load_dwordx2 s[8:9], s[4:5], 0x18
	s_load_dword s10, s[4:5], 0x0
	s_load_dwordx4 s[12:15], s[4:5], 0x8
	s_mov_b32 s6, s7
	s_ashr_i32 s7, s7, 31
	s_waitcnt lgkmcnt(0)
	s_mul_hi_u32 s11, s0, s6
	s_mul_i32 s16, s0, s7
	s_add_i32 s11, s11, s16
	s_mul_i32 s1, s1, s6
	s_add_i32 s1, s11, s1
	s_mul_i32 s0, s0, s6
	s_lshl_b64 s[0:1], s[0:1], 3
	s_add_u32 s11, s12, s0
	s_addc_u32 s12, s13, s1
	s_lshl_b64 s[0:1], s[14:15], 3
	s_add_u32 s11, s11, s0
	s_addc_u32 s12, s12, s1
	s_add_i32 s0, s9, s8
	s_mul_i32 s0, s0, s10
	s_ashr_i32 s1, s0, 31
	s_lshl_b64 s[0:1], s[0:1], 3
	s_add_u32 s0, s11, s0
	s_addc_u32 s1, s12, s1
	s_load_dwordx2 s[8:9], s[0:1], 0x0
	s_mov_b64 s[0:1], 0
	s_waitcnt lgkmcnt(0)
	v_cmp_neq_f64_e64 s[12:13], s[8:9], 0
	s_and_b64 vcc, exec, s[12:13]
	s_cbranch_vccz .LBB13_3
; %bb.1:
	v_div_scale_f64 v[0:1], s[12:13], s[8:9], s[8:9], 1.0
	v_div_scale_f64 v[6:7], vcc, 1.0, s[8:9], 1.0
	v_rcp_f64_e32 v[2:3], v[0:1]
	v_fma_f64 v[4:5], -v[0:1], v[2:3], 1.0
	v_fma_f64 v[2:3], v[2:3], v[4:5], v[2:3]
	v_fma_f64 v[4:5], -v[0:1], v[2:3], 1.0
	v_fma_f64 v[2:3], v[2:3], v[4:5], v[2:3]
	v_mul_f64 v[4:5], v[6:7], v[2:3]
	v_fma_f64 v[0:1], -v[0:1], v[4:5], v[6:7]
	v_div_fmas_f64 v[0:1], v[0:1], v[2:3], v[4:5]
	v_mov_b32_e32 v2, 0
	v_div_fixup_f64 v[0:1], v[0:1], s[8:9], 1.0
	s_lshl_b64 s[8:9], s[6:7], 3
	s_add_u32 s8, s2, s8
	s_addc_u32 s9, s3, s9
	global_store_dwordx2 v2, v[0:1], s[8:9]
	s_andn2_b64 vcc, exec, s[0:1]
	s_cbranch_vccz .LBB13_4
.LBB13_2:
	s_endpgm
.LBB13_3:
.LBB13_4:
	s_load_dwordx2 s[0:1], s[4:5], 0x30
	s_lshl_b64 s[8:9], s[6:7], 3
	s_add_u32 s2, s2, s8
	s_addc_u32 s3, s3, s9
	s_lshl_b64 s[6:7], s[6:7], 2
	s_waitcnt lgkmcnt(0)
	s_add_u32 s0, s0, s6
	s_addc_u32 s1, s1, s7
	s_load_dword s6, s[0:1], 0x0
	v_mov_b32_e32 v0, 0
	v_mov_b32_e32 v1, 0x3ff00000
	global_store_dwordx2 v0, v[0:1], s[2:3]
	s_waitcnt lgkmcnt(0)
	s_cmp_lg_u32 s6, 0
	s_cbranch_scc1 .LBB13_2
; %bb.5:
	s_load_dword s2, s[4:5], 0x38
	s_waitcnt lgkmcnt(0)
	s_add_i32 s2, s10, s2
	s_add_i32 s2, s2, 1
	v_mov_b32_e32 v1, s2
	global_store_dword v0, v1, s[0:1]
	s_endpgm
	.section	.rodata,"a",@progbits
	.p2align	6, 0x0
	.amdhsa_kernel _ZN9rocsolver6v33100L28getf2_npvt_check_singularityIdiiPdEEvT0_T2_lS3_S3_lPT_PT1_S3_
		.amdhsa_group_segment_fixed_size 0
		.amdhsa_private_segment_fixed_size 0
		.amdhsa_kernarg_size 60
		.amdhsa_user_sgpr_count 6
		.amdhsa_user_sgpr_private_segment_buffer 1
		.amdhsa_user_sgpr_dispatch_ptr 0
		.amdhsa_user_sgpr_queue_ptr 0
		.amdhsa_user_sgpr_kernarg_segment_ptr 1
		.amdhsa_user_sgpr_dispatch_id 0
		.amdhsa_user_sgpr_flat_scratch_init 0
		.amdhsa_user_sgpr_private_segment_size 0
		.amdhsa_uses_dynamic_stack 0
		.amdhsa_system_sgpr_private_segment_wavefront_offset 0
		.amdhsa_system_sgpr_workgroup_id_x 1
		.amdhsa_system_sgpr_workgroup_id_y 1
		.amdhsa_system_sgpr_workgroup_id_z 0
		.amdhsa_system_sgpr_workgroup_info 0
		.amdhsa_system_vgpr_workitem_id 0
		.amdhsa_next_free_vgpr 8
		.amdhsa_next_free_sgpr 17
		.amdhsa_reserve_vcc 1
		.amdhsa_reserve_flat_scratch 0
		.amdhsa_float_round_mode_32 0
		.amdhsa_float_round_mode_16_64 0
		.amdhsa_float_denorm_mode_32 3
		.amdhsa_float_denorm_mode_16_64 3
		.amdhsa_dx10_clamp 1
		.amdhsa_ieee_mode 1
		.amdhsa_fp16_overflow 0
		.amdhsa_exception_fp_ieee_invalid_op 0
		.amdhsa_exception_fp_denorm_src 0
		.amdhsa_exception_fp_ieee_div_zero 0
		.amdhsa_exception_fp_ieee_overflow 0
		.amdhsa_exception_fp_ieee_underflow 0
		.amdhsa_exception_fp_ieee_inexact 0
		.amdhsa_exception_int_div_zero 0
	.end_amdhsa_kernel
	.section	.text._ZN9rocsolver6v33100L28getf2_npvt_check_singularityIdiiPdEEvT0_T2_lS3_S3_lPT_PT1_S3_,"axG",@progbits,_ZN9rocsolver6v33100L28getf2_npvt_check_singularityIdiiPdEEvT0_T2_lS3_S3_lPT_PT1_S3_,comdat
.Lfunc_end13:
	.size	_ZN9rocsolver6v33100L28getf2_npvt_check_singularityIdiiPdEEvT0_T2_lS3_S3_lPT_PT1_S3_, .Lfunc_end13-_ZN9rocsolver6v33100L28getf2_npvt_check_singularityIdiiPdEEvT0_T2_lS3_S3_lPT_PT1_S3_
                                        ; -- End function
	.set _ZN9rocsolver6v33100L28getf2_npvt_check_singularityIdiiPdEEvT0_T2_lS3_S3_lPT_PT1_S3_.num_vgpr, 8
	.set _ZN9rocsolver6v33100L28getf2_npvt_check_singularityIdiiPdEEvT0_T2_lS3_S3_lPT_PT1_S3_.num_agpr, 0
	.set _ZN9rocsolver6v33100L28getf2_npvt_check_singularityIdiiPdEEvT0_T2_lS3_S3_lPT_PT1_S3_.numbered_sgpr, 17
	.set _ZN9rocsolver6v33100L28getf2_npvt_check_singularityIdiiPdEEvT0_T2_lS3_S3_lPT_PT1_S3_.num_named_barrier, 0
	.set _ZN9rocsolver6v33100L28getf2_npvt_check_singularityIdiiPdEEvT0_T2_lS3_S3_lPT_PT1_S3_.private_seg_size, 0
	.set _ZN9rocsolver6v33100L28getf2_npvt_check_singularityIdiiPdEEvT0_T2_lS3_S3_lPT_PT1_S3_.uses_vcc, 1
	.set _ZN9rocsolver6v33100L28getf2_npvt_check_singularityIdiiPdEEvT0_T2_lS3_S3_lPT_PT1_S3_.uses_flat_scratch, 0
	.set _ZN9rocsolver6v33100L28getf2_npvt_check_singularityIdiiPdEEvT0_T2_lS3_S3_lPT_PT1_S3_.has_dyn_sized_stack, 0
	.set _ZN9rocsolver6v33100L28getf2_npvt_check_singularityIdiiPdEEvT0_T2_lS3_S3_lPT_PT1_S3_.has_recursion, 0
	.set _ZN9rocsolver6v33100L28getf2_npvt_check_singularityIdiiPdEEvT0_T2_lS3_S3_lPT_PT1_S3_.has_indirect_call, 0
	.section	.AMDGPU.csdata,"",@progbits
; Kernel info:
; codeLenInByte = 380
; TotalNumSgprs: 21
; NumVgprs: 8
; ScratchSize: 0
; MemoryBound: 0
; FloatMode: 240
; IeeeMode: 1
; LDSByteSize: 0 bytes/workgroup (compile time only)
; SGPRBlocks: 2
; VGPRBlocks: 1
; NumSGPRsForWavesPerEU: 21
; NumVGPRsForWavesPerEU: 8
; Occupancy: 10
; WaveLimiterHint : 0
; COMPUTE_PGM_RSRC2:SCRATCH_EN: 0
; COMPUTE_PGM_RSRC2:USER_SGPR: 6
; COMPUTE_PGM_RSRC2:TRAP_HANDLER: 0
; COMPUTE_PGM_RSRC2:TGID_X_EN: 1
; COMPUTE_PGM_RSRC2:TGID_Y_EN: 1
; COMPUTE_PGM_RSRC2:TGID_Z_EN: 0
; COMPUTE_PGM_RSRC2:TIDIG_COMP_CNT: 0
	.section	.text._ZN9rocsolver6v33100L19getrf_row_permutateIdiPdEEvT0_S3_S3_T1_lS3_S3_lPS3_l,"axG",@progbits,_ZN9rocsolver6v33100L19getrf_row_permutateIdiPdEEvT0_S3_S3_T1_lS3_S3_lPS3_l,comdat
	.globl	_ZN9rocsolver6v33100L19getrf_row_permutateIdiPdEEvT0_S3_S3_T1_lS3_S3_lPS3_l ; -- Begin function _ZN9rocsolver6v33100L19getrf_row_permutateIdiPdEEvT0_S3_S3_T1_lS3_S3_lPS3_l
	.p2align	8
	.type	_ZN9rocsolver6v33100L19getrf_row_permutateIdiPdEEvT0_S3_S3_T1_lS3_S3_lPS3_l,@function
_ZN9rocsolver6v33100L19getrf_row_permutateIdiPdEEvT0_S3_S3_T1_lS3_S3_lPS3_l: ; @_ZN9rocsolver6v33100L19getrf_row_permutateIdiPdEEvT0_S3_S3_T1_lS3_S3_lPS3_l
; %bb.0:
	s_load_dword s2, s[4:5], 0x4c
	s_load_dwordx4 s[12:15], s[4:5], 0x0
	s_add_u32 s0, s4, 64
	s_addc_u32 s1, s5, 0
	s_waitcnt lgkmcnt(0)
	s_lshr_b32 s2, s2, 16
	s_mul_i32 s7, s7, s2
	v_add_u32_e32 v2, s7, v1
	v_mov_b32_e32 v3, s14
	v_cmp_le_i32_e32 vcc, s13, v2
	v_cndmask_b32_e32 v3, 0, v3, vcc
	v_add_u32_e32 v2, v3, v2
	v_cmp_gt_i32_e32 vcc, s12, v2
	s_and_saveexec_b64 s[2:3], vcc
	s_cbranch_execz .LBB14_2
; %bb.1:
	s_load_dword s9, s[0:1], 0xc
	s_load_dwordx4 s[12:15], s[4:5], 0x28
	s_load_dwordx4 s[16:19], s[4:5], 0x10
	s_load_dwordx2 s[2:3], s[4:5], 0x20
	s_load_dwordx2 s[6:7], s[4:5], 0x38
	s_ashr_i32 s5, s8, 31
	s_waitcnt lgkmcnt(0)
	s_mul_hi_u32 s0, s12, s8
	s_mul_i32 s1, s12, s5
	s_add_i32 s0, s0, s1
	s_mul_i32 s1, s13, s8
	s_add_i32 s1, s0, s1
	s_mul_i32 s0, s12, s8
	s_and_b32 s4, s9, 0xffff
	s_lshl_b64 s[0:1], s[0:1], 3
	s_add_u32 s9, s16, s0
	s_addc_u32 s10, s17, s1
	s_lshl_b64 s[0:1], s[18:19], 3
	s_add_u32 s9, s9, s0
	s_addc_u32 s10, s10, s1
	s_mul_hi_u32 s0, s6, s8
	s_mul_i32 s1, s6, s5
	s_add_i32 s0, s0, s1
	s_mul_i32 s1, s7, s8
	s_add_i32 s1, s0, s1
	s_mul_i32 s0, s6, s8
	s_lshl_b64 s[0:1], s[0:1], 2
	s_add_u32 s0, s14, s0
	s_addc_u32 s1, s15, s1
	v_lshlrev_b32_e32 v3, 2, v0
	global_load_dword v3, v3, s[0:1]
	v_mov_b32_e32 v6, s1
	v_mul_lo_u32 v2, v2, s3
	v_mov_b32_e32 v7, s10
	v_mov_b32_e32 v8, s10
	v_lshlrev_b32_e32 v11, 3, v0
	s_waitcnt vmcnt(0)
	v_ashrrev_i32_e32 v4, 31, v3
	v_lshlrev_b64 v[4:5], 2, v[3:4]
	v_add_co_u32_e32 v4, vcc, s0, v4
	v_addc_co_u32_e32 v5, vcc, v6, v5, vcc
	global_load_dword v5, v[4:5], off
	v_mad_u64_u32 v[3:4], s[0:1], v3, s2, v[2:3]
	v_ashrrev_i32_e32 v4, 31, v3
	v_lshlrev_b64 v[3:4], 3, v[3:4]
	s_waitcnt vmcnt(0)
	v_mad_u64_u32 v[5:6], s[0:1], v5, s2, v[2:3]
	v_add_co_u32_e32 v3, vcc, s9, v3
	v_ashrrev_i32_e32 v6, 31, v5
	v_lshlrev_b64 v[5:6], 3, v[5:6]
	v_addc_co_u32_e32 v4, vcc, v7, v4, vcc
	v_add_co_u32_e32 v5, vcc, s9, v5
	v_addc_co_u32_e32 v6, vcc, v8, v6, vcc
	global_load_dwordx2 v[7:8], v[3:4], off
	global_load_dwordx2 v[9:10], v[5:6], off
	v_mad_u64_u32 v[5:6], s[0:1], s2, v0, v[2:3]
	v_mul_u32_u24_e32 v0, s4, v1
	v_lshlrev_b32_e32 v0, 3, v0
	v_add3_u32 v2, 0, v11, v0
	v_ashrrev_i32_e32 v6, 31, v5
	v_lshlrev_b64 v[0:1], 3, v[5:6]
	v_add_co_u32_e32 v0, vcc, s9, v0
	s_waitcnt vmcnt(1)
	ds_write_b64 v2, v[7:8]
	s_waitcnt vmcnt(0)
	global_store_dwordx2 v[3:4], v[9:10], off
	s_waitcnt vmcnt(0) lgkmcnt(0)
	s_barrier
	ds_read_b64 v[2:3], v2
	v_mov_b32_e32 v4, s10
	v_addc_co_u32_e32 v1, vcc, v4, v1, vcc
	s_waitcnt lgkmcnt(0)
	global_store_dwordx2 v[0:1], v[2:3], off
.LBB14_2:
	s_endpgm
	.section	.rodata,"a",@progbits
	.p2align	6, 0x0
	.amdhsa_kernel _ZN9rocsolver6v33100L19getrf_row_permutateIdiPdEEvT0_S3_S3_T1_lS3_S3_lPS3_l
		.amdhsa_group_segment_fixed_size 0
		.amdhsa_private_segment_fixed_size 0
		.amdhsa_kernarg_size 320
		.amdhsa_user_sgpr_count 6
		.amdhsa_user_sgpr_private_segment_buffer 1
		.amdhsa_user_sgpr_dispatch_ptr 0
		.amdhsa_user_sgpr_queue_ptr 0
		.amdhsa_user_sgpr_kernarg_segment_ptr 1
		.amdhsa_user_sgpr_dispatch_id 0
		.amdhsa_user_sgpr_flat_scratch_init 0
		.amdhsa_user_sgpr_private_segment_size 0
		.amdhsa_uses_dynamic_stack 0
		.amdhsa_system_sgpr_private_segment_wavefront_offset 0
		.amdhsa_system_sgpr_workgroup_id_x 1
		.amdhsa_system_sgpr_workgroup_id_y 1
		.amdhsa_system_sgpr_workgroup_id_z 1
		.amdhsa_system_sgpr_workgroup_info 0
		.amdhsa_system_vgpr_workitem_id 1
		.amdhsa_next_free_vgpr 12
		.amdhsa_next_free_sgpr 20
		.amdhsa_reserve_vcc 1
		.amdhsa_reserve_flat_scratch 0
		.amdhsa_float_round_mode_32 0
		.amdhsa_float_round_mode_16_64 0
		.amdhsa_float_denorm_mode_32 3
		.amdhsa_float_denorm_mode_16_64 3
		.amdhsa_dx10_clamp 1
		.amdhsa_ieee_mode 1
		.amdhsa_fp16_overflow 0
		.amdhsa_exception_fp_ieee_invalid_op 0
		.amdhsa_exception_fp_denorm_src 0
		.amdhsa_exception_fp_ieee_div_zero 0
		.amdhsa_exception_fp_ieee_overflow 0
		.amdhsa_exception_fp_ieee_underflow 0
		.amdhsa_exception_fp_ieee_inexact 0
		.amdhsa_exception_int_div_zero 0
	.end_amdhsa_kernel
	.section	.text._ZN9rocsolver6v33100L19getrf_row_permutateIdiPdEEvT0_S3_S3_T1_lS3_S3_lPS3_l,"axG",@progbits,_ZN9rocsolver6v33100L19getrf_row_permutateIdiPdEEvT0_S3_S3_T1_lS3_S3_lPS3_l,comdat
.Lfunc_end14:
	.size	_ZN9rocsolver6v33100L19getrf_row_permutateIdiPdEEvT0_S3_S3_T1_lS3_S3_lPS3_l, .Lfunc_end14-_ZN9rocsolver6v33100L19getrf_row_permutateIdiPdEEvT0_S3_S3_T1_lS3_S3_lPS3_l
                                        ; -- End function
	.set _ZN9rocsolver6v33100L19getrf_row_permutateIdiPdEEvT0_S3_S3_T1_lS3_S3_lPS3_l.num_vgpr, 12
	.set _ZN9rocsolver6v33100L19getrf_row_permutateIdiPdEEvT0_S3_S3_T1_lS3_S3_lPS3_l.num_agpr, 0
	.set _ZN9rocsolver6v33100L19getrf_row_permutateIdiPdEEvT0_S3_S3_T1_lS3_S3_lPS3_l.numbered_sgpr, 20
	.set _ZN9rocsolver6v33100L19getrf_row_permutateIdiPdEEvT0_S3_S3_T1_lS3_S3_lPS3_l.num_named_barrier, 0
	.set _ZN9rocsolver6v33100L19getrf_row_permutateIdiPdEEvT0_S3_S3_T1_lS3_S3_lPS3_l.private_seg_size, 0
	.set _ZN9rocsolver6v33100L19getrf_row_permutateIdiPdEEvT0_S3_S3_T1_lS3_S3_lPS3_l.uses_vcc, 1
	.set _ZN9rocsolver6v33100L19getrf_row_permutateIdiPdEEvT0_S3_S3_T1_lS3_S3_lPS3_l.uses_flat_scratch, 0
	.set _ZN9rocsolver6v33100L19getrf_row_permutateIdiPdEEvT0_S3_S3_T1_lS3_S3_lPS3_l.has_dyn_sized_stack, 0
	.set _ZN9rocsolver6v33100L19getrf_row_permutateIdiPdEEvT0_S3_S3_T1_lS3_S3_lPS3_l.has_recursion, 0
	.set _ZN9rocsolver6v33100L19getrf_row_permutateIdiPdEEvT0_S3_S3_T1_lS3_S3_lPS3_l.has_indirect_call, 0
	.section	.AMDGPU.csdata,"",@progbits
; Kernel info:
; codeLenInByte = 456
; TotalNumSgprs: 24
; NumVgprs: 12
; ScratchSize: 0
; MemoryBound: 0
; FloatMode: 240
; IeeeMode: 1
; LDSByteSize: 0 bytes/workgroup (compile time only)
; SGPRBlocks: 2
; VGPRBlocks: 2
; NumSGPRsForWavesPerEU: 24
; NumVGPRsForWavesPerEU: 12
; Occupancy: 10
; WaveLimiterHint : 1
; COMPUTE_PGM_RSRC2:SCRATCH_EN: 0
; COMPUTE_PGM_RSRC2:USER_SGPR: 6
; COMPUTE_PGM_RSRC2:TRAP_HANDLER: 0
; COMPUTE_PGM_RSRC2:TGID_X_EN: 1
; COMPUTE_PGM_RSRC2:TGID_Y_EN: 1
; COMPUTE_PGM_RSRC2:TGID_Z_EN: 1
; COMPUTE_PGM_RSRC2:TIDIG_COMP_CNT: 1
	.section	.text._ZN9rocsolver6v33100L8copy_matIdPdS2_NS0_7no_maskEEEviiT0_iilT1_iilT2_13rocblas_fill_17rocblas_diagonal_,"axG",@progbits,_ZN9rocsolver6v33100L8copy_matIdPdS2_NS0_7no_maskEEEviiT0_iilT1_iilT2_13rocblas_fill_17rocblas_diagonal_,comdat
	.globl	_ZN9rocsolver6v33100L8copy_matIdPdS2_NS0_7no_maskEEEviiT0_iilT1_iilT2_13rocblas_fill_17rocblas_diagonal_ ; -- Begin function _ZN9rocsolver6v33100L8copy_matIdPdS2_NS0_7no_maskEEEviiT0_iilT1_iilT2_13rocblas_fill_17rocblas_diagonal_
	.p2align	8
	.type	_ZN9rocsolver6v33100L8copy_matIdPdS2_NS0_7no_maskEEEviiT0_iilT1_iilT2_13rocblas_fill_17rocblas_diagonal_,@function
_ZN9rocsolver6v33100L8copy_matIdPdS2_NS0_7no_maskEEEviiT0_iilT1_iilT2_13rocblas_fill_17rocblas_diagonal_: ; @_ZN9rocsolver6v33100L8copy_matIdPdS2_NS0_7no_maskEEEviiT0_iilT1_iilT2_13rocblas_fill_17rocblas_diagonal_
; %bb.0:
	s_load_dword s2, s[4:5], 0x54
	s_load_dwordx2 s[0:1], s[4:5], 0x0
	s_waitcnt lgkmcnt(0)
	s_lshr_b32 s3, s2, 16
	s_and_b32 s2, s2, 0xffff
	s_mul_i32 s7, s7, s3
	s_mul_i32 s6, s6, s2
	v_add_u32_e32 v1, s7, v1
	v_add_u32_e32 v0, s6, v0
	v_cmp_gt_u32_e32 vcc, s0, v0
	v_cmp_gt_u32_e64 s[0:1], s1, v1
	s_and_b64 s[0:1], s[0:1], vcc
	s_and_saveexec_b64 s[2:3], s[0:1]
	s_cbranch_execz .LBB15_14
; %bb.1:
	s_load_dwordx2 s[2:3], s[4:5], 0x3c
	s_waitcnt lgkmcnt(0)
	s_cmpk_lt_i32 s2, 0x7a
	s_cbranch_scc1 .LBB15_4
; %bb.2:
	s_cmpk_gt_i32 s2, 0x7a
	s_cbranch_scc0 .LBB15_5
; %bb.3:
	s_cmpk_lg_i32 s2, 0x7b
	s_mov_b64 s[6:7], -1
	s_cselect_b64 s[10:11], -1, 0
	s_cbranch_execz .LBB15_6
	s_branch .LBB15_7
.LBB15_4:
	s_mov_b64 s[10:11], 0
	s_mov_b64 s[6:7], 0
	s_cbranch_execnz .LBB15_8
	s_branch .LBB15_10
.LBB15_5:
	s_mov_b64 s[6:7], 0
	s_mov_b64 s[10:11], 0
.LBB15_6:
	v_cmp_gt_u32_e32 vcc, v0, v1
	v_cmp_le_u32_e64 s[0:1], v0, v1
	s_andn2_b64 s[6:7], s[6:7], exec
	s_and_b64 s[12:13], vcc, exec
	s_andn2_b64 s[10:11], s[10:11], exec
	s_and_b64 s[0:1], s[0:1], exec
	s_or_b64 s[6:7], s[6:7], s[12:13]
	s_or_b64 s[10:11], s[10:11], s[0:1]
.LBB15_7:
	s_branch .LBB15_10
.LBB15_8:
	s_cmpk_eq_i32 s2, 0x79
	s_mov_b64 s[10:11], -1
	s_cbranch_scc0 .LBB15_10
; %bb.9:
	v_cmp_gt_u32_e32 vcc, v1, v0
	v_cmp_le_u32_e64 s[0:1], v1, v0
	s_andn2_b64 s[6:7], s[6:7], exec
	s_and_b64 s[10:11], vcc, exec
	s_or_b64 s[6:7], s[6:7], s[10:11]
	s_orn2_b64 s[10:11], s[0:1], exec
.LBB15_10:
	s_and_saveexec_b64 s[0:1], s[10:11]
; %bb.11:
	s_cmpk_eq_i32 s3, 0x83
	s_cselect_b64 s[2:3], -1, 0
	v_cmp_eq_u32_e32 vcc, v0, v1
	s_and_b64 s[2:3], s[2:3], vcc
	s_andn2_b64 s[6:7], s[6:7], exec
	s_and_b64 s[2:3], s[2:3], exec
	s_or_b64 s[6:7], s[6:7], s[2:3]
; %bb.12:
	s_or_b64 exec, exec, s[0:1]
	s_and_b64 exec, exec, s[6:7]
	s_cbranch_execz .LBB15_14
; %bb.13:
	s_load_dwordx8 s[12:19], s[4:5], 0x8
	s_waitcnt lgkmcnt(0)
	s_mul_i32 s3, s17, s8
	s_mul_hi_u32 s6, s16, s8
	s_mul_i32 s2, s16, s8
	s_add_i32 s3, s6, s3
	s_ashr_i32 s1, s14, 31
	s_lshl_b64 s[2:3], s[2:3], 3
	s_add_u32 s6, s12, s2
	s_addc_u32 s7, s13, s3
	v_mad_u64_u32 v[2:3], s[2:3], v1, s15, v[0:1]
	s_mov_b32 s0, s14
	s_lshl_b64 s[0:1], s[0:1], 3
	v_mov_b32_e32 v3, 0
	s_add_u32 s0, s6, s0
	v_lshlrev_b64 v[4:5], 3, v[2:3]
	s_addc_u32 s1, s7, s1
	v_mov_b32_e32 v2, s1
	v_add_co_u32_e32 v4, vcc, s0, v4
	v_addc_co_u32_e32 v5, vcc, v2, v5, vcc
	global_load_dwordx2 v[4:5], v[4:5], off
	s_load_dwordx4 s[0:3], s[4:5], 0x28
	s_waitcnt lgkmcnt(0)
	s_ashr_i32 s5, s0, 31
	s_mov_b32 s4, s0
	s_mul_i32 s0, s3, s8
	s_mul_hi_u32 s3, s2, s8
	s_add_i32 s3, s3, s0
	s_mul_i32 s2, s2, s8
	v_mad_u64_u32 v[0:1], s[0:1], v1, s1, v[0:1]
	s_lshl_b64 s[2:3], s[2:3], 3
	s_add_u32 s6, s18, s2
	s_addc_u32 s7, s19, s3
	s_lshl_b64 s[2:3], s[4:5], 3
	v_mov_b32_e32 v1, v3
	s_add_u32 s0, s6, s2
	v_lshlrev_b64 v[0:1], 3, v[0:1]
	s_addc_u32 s1, s7, s3
	v_mov_b32_e32 v2, s1
	v_add_co_u32_e32 v0, vcc, s0, v0
	v_addc_co_u32_e32 v1, vcc, v2, v1, vcc
	s_waitcnt vmcnt(0)
	global_store_dwordx2 v[0:1], v[4:5], off
.LBB15_14:
	s_endpgm
	.section	.rodata,"a",@progbits
	.p2align	6, 0x0
	.amdhsa_kernel _ZN9rocsolver6v33100L8copy_matIdPdS2_NS0_7no_maskEEEviiT0_iilT1_iilT2_13rocblas_fill_17rocblas_diagonal_
		.amdhsa_group_segment_fixed_size 0
		.amdhsa_private_segment_fixed_size 0
		.amdhsa_kernarg_size 328
		.amdhsa_user_sgpr_count 6
		.amdhsa_user_sgpr_private_segment_buffer 1
		.amdhsa_user_sgpr_dispatch_ptr 0
		.amdhsa_user_sgpr_queue_ptr 0
		.amdhsa_user_sgpr_kernarg_segment_ptr 1
		.amdhsa_user_sgpr_dispatch_id 0
		.amdhsa_user_sgpr_flat_scratch_init 0
		.amdhsa_user_sgpr_private_segment_size 0
		.amdhsa_uses_dynamic_stack 0
		.amdhsa_system_sgpr_private_segment_wavefront_offset 0
		.amdhsa_system_sgpr_workgroup_id_x 1
		.amdhsa_system_sgpr_workgroup_id_y 1
		.amdhsa_system_sgpr_workgroup_id_z 1
		.amdhsa_system_sgpr_workgroup_info 0
		.amdhsa_system_vgpr_workitem_id 1
		.amdhsa_next_free_vgpr 6
		.amdhsa_next_free_sgpr 20
		.amdhsa_reserve_vcc 1
		.amdhsa_reserve_flat_scratch 0
		.amdhsa_float_round_mode_32 0
		.amdhsa_float_round_mode_16_64 0
		.amdhsa_float_denorm_mode_32 3
		.amdhsa_float_denorm_mode_16_64 3
		.amdhsa_dx10_clamp 1
		.amdhsa_ieee_mode 1
		.amdhsa_fp16_overflow 0
		.amdhsa_exception_fp_ieee_invalid_op 0
		.amdhsa_exception_fp_denorm_src 0
		.amdhsa_exception_fp_ieee_div_zero 0
		.amdhsa_exception_fp_ieee_overflow 0
		.amdhsa_exception_fp_ieee_underflow 0
		.amdhsa_exception_fp_ieee_inexact 0
		.amdhsa_exception_int_div_zero 0
	.end_amdhsa_kernel
	.section	.text._ZN9rocsolver6v33100L8copy_matIdPdS2_NS0_7no_maskEEEviiT0_iilT1_iilT2_13rocblas_fill_17rocblas_diagonal_,"axG",@progbits,_ZN9rocsolver6v33100L8copy_matIdPdS2_NS0_7no_maskEEEviiT0_iilT1_iilT2_13rocblas_fill_17rocblas_diagonal_,comdat
.Lfunc_end15:
	.size	_ZN9rocsolver6v33100L8copy_matIdPdS2_NS0_7no_maskEEEviiT0_iilT1_iilT2_13rocblas_fill_17rocblas_diagonal_, .Lfunc_end15-_ZN9rocsolver6v33100L8copy_matIdPdS2_NS0_7no_maskEEEviiT0_iilT1_iilT2_13rocblas_fill_17rocblas_diagonal_
                                        ; -- End function
	.set _ZN9rocsolver6v33100L8copy_matIdPdS2_NS0_7no_maskEEEviiT0_iilT1_iilT2_13rocblas_fill_17rocblas_diagonal_.num_vgpr, 6
	.set _ZN9rocsolver6v33100L8copy_matIdPdS2_NS0_7no_maskEEEviiT0_iilT1_iilT2_13rocblas_fill_17rocblas_diagonal_.num_agpr, 0
	.set _ZN9rocsolver6v33100L8copy_matIdPdS2_NS0_7no_maskEEEviiT0_iilT1_iilT2_13rocblas_fill_17rocblas_diagonal_.numbered_sgpr, 20
	.set _ZN9rocsolver6v33100L8copy_matIdPdS2_NS0_7no_maskEEEviiT0_iilT1_iilT2_13rocblas_fill_17rocblas_diagonal_.num_named_barrier, 0
	.set _ZN9rocsolver6v33100L8copy_matIdPdS2_NS0_7no_maskEEEviiT0_iilT1_iilT2_13rocblas_fill_17rocblas_diagonal_.private_seg_size, 0
	.set _ZN9rocsolver6v33100L8copy_matIdPdS2_NS0_7no_maskEEEviiT0_iilT1_iilT2_13rocblas_fill_17rocblas_diagonal_.uses_vcc, 1
	.set _ZN9rocsolver6v33100L8copy_matIdPdS2_NS0_7no_maskEEEviiT0_iilT1_iilT2_13rocblas_fill_17rocblas_diagonal_.uses_flat_scratch, 0
	.set _ZN9rocsolver6v33100L8copy_matIdPdS2_NS0_7no_maskEEEviiT0_iilT1_iilT2_13rocblas_fill_17rocblas_diagonal_.has_dyn_sized_stack, 0
	.set _ZN9rocsolver6v33100L8copy_matIdPdS2_NS0_7no_maskEEEviiT0_iilT1_iilT2_13rocblas_fill_17rocblas_diagonal_.has_recursion, 0
	.set _ZN9rocsolver6v33100L8copy_matIdPdS2_NS0_7no_maskEEEviiT0_iilT1_iilT2_13rocblas_fill_17rocblas_diagonal_.has_indirect_call, 0
	.section	.AMDGPU.csdata,"",@progbits
; Kernel info:
; codeLenInByte = 476
; TotalNumSgprs: 24
; NumVgprs: 6
; ScratchSize: 0
; MemoryBound: 0
; FloatMode: 240
; IeeeMode: 1
; LDSByteSize: 0 bytes/workgroup (compile time only)
; SGPRBlocks: 2
; VGPRBlocks: 1
; NumSGPRsForWavesPerEU: 24
; NumVGPRsForWavesPerEU: 6
; Occupancy: 10
; WaveLimiterHint : 0
; COMPUTE_PGM_RSRC2:SCRATCH_EN: 0
; COMPUTE_PGM_RSRC2:USER_SGPR: 6
; COMPUTE_PGM_RSRC2:TRAP_HANDLER: 0
; COMPUTE_PGM_RSRC2:TGID_X_EN: 1
; COMPUTE_PGM_RSRC2:TGID_Y_EN: 1
; COMPUTE_PGM_RSRC2:TGID_Z_EN: 1
; COMPUTE_PGM_RSRC2:TIDIG_COMP_CNT: 1
	.section	.text._ZN9rocsolver6v33100L12laswp_kernelIdiPdEEvT0_T1_lS3_S3_lS3_S3_PKS3_lS3_l,"axG",@progbits,_ZN9rocsolver6v33100L12laswp_kernelIdiPdEEvT0_T1_lS3_S3_lS3_S3_PKS3_lS3_l,comdat
	.globl	_ZN9rocsolver6v33100L12laswp_kernelIdiPdEEvT0_T1_lS3_S3_lS3_S3_PKS3_lS3_l ; -- Begin function _ZN9rocsolver6v33100L12laswp_kernelIdiPdEEvT0_T1_lS3_S3_lS3_S3_PKS3_lS3_l
	.p2align	8
	.type	_ZN9rocsolver6v33100L12laswp_kernelIdiPdEEvT0_T1_lS3_S3_lS3_S3_PKS3_lS3_l,@function
_ZN9rocsolver6v33100L12laswp_kernelIdiPdEEvT0_T1_lS3_S3_lS3_S3_PKS3_lS3_l: ; @_ZN9rocsolver6v33100L12laswp_kernelIdiPdEEvT0_T1_lS3_S3_lS3_S3_PKS3_lS3_l
; %bb.0:
	s_load_dword s0, s[4:5], 0x5c
	s_load_dword s1, s[4:5], 0x0
	s_waitcnt lgkmcnt(0)
	s_and_b32 s0, s0, 0xffff
	s_mul_i32 s6, s6, s0
	v_add_u32_e32 v0, s6, v0
	v_cmp_gt_i32_e32 vcc, s1, v0
	s_and_saveexec_b64 s[0:1], vcc
	s_cbranch_execz .LBB16_10
; %bb.1:
	s_load_dword s17, s[4:5], 0x40
	s_load_dwordx2 s[0:1], s[4:5], 0x28
	s_waitcnt lgkmcnt(0)
	s_cmp_gt_i32 s17, -1
	s_cbranch_scc0 .LBB16_3
; %bb.2:
	s_add_i32 s6, s1, 1
	s_mov_b32 s16, 1
	s_mov_b32 s2, s0
	s_cbranch_execz .LBB16_4
	s_branch .LBB16_5
.LBB16_3:
                                        ; implicit-def: $sgpr6
	s_mov_b32 s16, 1
	s_mov_b32 s2, s0
.LBB16_4:
	s_mov_b32 s16, -1
	s_add_i32 s6, s0, -1
	s_sub_i32 s17, 0, s17
	s_mov_b32 s2, s1
.LBB16_5:
	s_cmp_eq_u32 s2, s6
	s_cbranch_scc1 .LBB16_10
; %bb.6:
	s_load_dwordx2 s[18:19], s[4:5], 0x48
	s_load_dwordx4 s[20:23], s[4:5], 0x30
	s_load_dwordx8 s[8:15], s[4:5], 0x8
	s_ashr_i32 s1, s7, 31
	s_waitcnt lgkmcnt(0)
	s_mul_hi_u32 s3, s18, s7
	s_mul_i32 s4, s18, s1
	s_add_i32 s3, s3, s4
	s_mul_i32 s4, s19, s7
	s_add_i32 s5, s3, s4
	s_mul_i32 s4, s18, s7
	s_lshl_b64 s[4:5], s[4:5], 2
	s_add_u32 s3, s20, s4
	s_addc_u32 s18, s21, s5
	s_lshl_b64 s[4:5], s[22:23], 2
	s_add_u32 s3, s3, s4
	s_addc_u32 s4, s18, s5
	s_mul_hi_u32 s5, s14, s7
	s_mul_i32 s1, s14, s1
	s_add_i32 s1, s5, s1
	s_mul_i32 s5, s15, s7
	s_add_i32 s15, s1, s5
	s_mul_i32 s14, s14, s7
	s_lshl_b64 s[14:15], s[14:15], 3
	s_add_u32 s1, s8, s14
	s_addc_u32 s7, s9, s15
	s_lshl_b64 s[8:9], s[10:11], 3
	v_mul_lo_u32 v2, v0, s13
	s_add_u32 s5, s1, s8
	s_addc_u32 s7, s7, s9
	s_add_i32 s1, s2, -1
	s_mul_i32 s1, s12, s1
	v_add_u32_e32 v0, s1, v2
	s_sub_i32 s1, s2, s0
	s_mul_i32 s1, s17, s1
	s_mul_i32 s8, s16, s12
	s_add_i32 s0, s0, s1
	s_mul_i32 s9, s17, s16
	s_branch .LBB16_8
.LBB16_7:                               ;   in Loop: Header=BB16_8 Depth=1
	s_add_i32 s2, s2, s16
	s_add_i32 s0, s0, s9
	s_cmp_lg_u32 s6, s2
	v_add_u32_e32 v0, s8, v0
	s_cbranch_scc0 .LBB16_10
.LBB16_8:                               ; =>This Inner Loop Header: Depth=1
	s_ashr_i32 s1, s0, 31
	s_lshl_b64 s[10:11], s[0:1], 2
	s_add_u32 s1, s3, s10
	s_addc_u32 s11, s4, s11
	s_add_u32 s10, s1, -4
	s_addc_u32 s11, s11, -1
	s_load_dword s1, s[10:11], 0x0
	s_waitcnt lgkmcnt(0)
	s_cmp_eq_u32 s2, s1
	s_cbranch_scc1 .LBB16_7
; %bb.9:                                ;   in Loop: Header=BB16_8 Depth=1
	s_add_i32 s1, s1, -1
	v_ashrrev_i32_e32 v1, 31, v0
	s_mul_i32 s1, s1, s12
	v_lshlrev_b64 v[3:4], 3, v[0:1]
	v_add_u32_e32 v5, s1, v2
	v_ashrrev_i32_e32 v6, 31, v5
	v_mov_b32_e32 v1, s7
	v_add_co_u32_e32 v3, vcc, s5, v3
	v_lshlrev_b64 v[5:6], 3, v[5:6]
	v_addc_co_u32_e32 v4, vcc, v1, v4, vcc
	v_add_co_u32_e32 v5, vcc, s5, v5
	v_addc_co_u32_e32 v6, vcc, v1, v6, vcc
	global_load_dwordx2 v[7:8], v[5:6], off
	global_load_dwordx2 v[9:10], v[3:4], off
	s_waitcnt vmcnt(1)
	global_store_dwordx2 v[3:4], v[7:8], off
	s_waitcnt vmcnt(1)
	global_store_dwordx2 v[5:6], v[9:10], off
	s_branch .LBB16_7
.LBB16_10:
	s_endpgm
	.section	.rodata,"a",@progbits
	.p2align	6, 0x0
	.amdhsa_kernel _ZN9rocsolver6v33100L12laswp_kernelIdiPdEEvT0_T1_lS3_S3_lS3_S3_PKS3_lS3_l
		.amdhsa_group_segment_fixed_size 0
		.amdhsa_private_segment_fixed_size 0
		.amdhsa_kernarg_size 336
		.amdhsa_user_sgpr_count 6
		.amdhsa_user_sgpr_private_segment_buffer 1
		.amdhsa_user_sgpr_dispatch_ptr 0
		.amdhsa_user_sgpr_queue_ptr 0
		.amdhsa_user_sgpr_kernarg_segment_ptr 1
		.amdhsa_user_sgpr_dispatch_id 0
		.amdhsa_user_sgpr_flat_scratch_init 0
		.amdhsa_user_sgpr_private_segment_size 0
		.amdhsa_uses_dynamic_stack 0
		.amdhsa_system_sgpr_private_segment_wavefront_offset 0
		.amdhsa_system_sgpr_workgroup_id_x 1
		.amdhsa_system_sgpr_workgroup_id_y 1
		.amdhsa_system_sgpr_workgroup_id_z 0
		.amdhsa_system_sgpr_workgroup_info 0
		.amdhsa_system_vgpr_workitem_id 0
		.amdhsa_next_free_vgpr 11
		.amdhsa_next_free_sgpr 24
		.amdhsa_reserve_vcc 1
		.amdhsa_reserve_flat_scratch 0
		.amdhsa_float_round_mode_32 0
		.amdhsa_float_round_mode_16_64 0
		.amdhsa_float_denorm_mode_32 3
		.amdhsa_float_denorm_mode_16_64 3
		.amdhsa_dx10_clamp 1
		.amdhsa_ieee_mode 1
		.amdhsa_fp16_overflow 0
		.amdhsa_exception_fp_ieee_invalid_op 0
		.amdhsa_exception_fp_denorm_src 0
		.amdhsa_exception_fp_ieee_div_zero 0
		.amdhsa_exception_fp_ieee_overflow 0
		.amdhsa_exception_fp_ieee_underflow 0
		.amdhsa_exception_fp_ieee_inexact 0
		.amdhsa_exception_int_div_zero 0
	.end_amdhsa_kernel
	.section	.text._ZN9rocsolver6v33100L12laswp_kernelIdiPdEEvT0_T1_lS3_S3_lS3_S3_PKS3_lS3_l,"axG",@progbits,_ZN9rocsolver6v33100L12laswp_kernelIdiPdEEvT0_T1_lS3_S3_lS3_S3_PKS3_lS3_l,comdat
.Lfunc_end16:
	.size	_ZN9rocsolver6v33100L12laswp_kernelIdiPdEEvT0_T1_lS3_S3_lS3_S3_PKS3_lS3_l, .Lfunc_end16-_ZN9rocsolver6v33100L12laswp_kernelIdiPdEEvT0_T1_lS3_S3_lS3_S3_PKS3_lS3_l
                                        ; -- End function
	.set _ZN9rocsolver6v33100L12laswp_kernelIdiPdEEvT0_T1_lS3_S3_lS3_S3_PKS3_lS3_l.num_vgpr, 11
	.set _ZN9rocsolver6v33100L12laswp_kernelIdiPdEEvT0_T1_lS3_S3_lS3_S3_PKS3_lS3_l.num_agpr, 0
	.set _ZN9rocsolver6v33100L12laswp_kernelIdiPdEEvT0_T1_lS3_S3_lS3_S3_PKS3_lS3_l.numbered_sgpr, 24
	.set _ZN9rocsolver6v33100L12laswp_kernelIdiPdEEvT0_T1_lS3_S3_lS3_S3_PKS3_lS3_l.num_named_barrier, 0
	.set _ZN9rocsolver6v33100L12laswp_kernelIdiPdEEvT0_T1_lS3_S3_lS3_S3_PKS3_lS3_l.private_seg_size, 0
	.set _ZN9rocsolver6v33100L12laswp_kernelIdiPdEEvT0_T1_lS3_S3_lS3_S3_PKS3_lS3_l.uses_vcc, 1
	.set _ZN9rocsolver6v33100L12laswp_kernelIdiPdEEvT0_T1_lS3_S3_lS3_S3_PKS3_lS3_l.uses_flat_scratch, 0
	.set _ZN9rocsolver6v33100L12laswp_kernelIdiPdEEvT0_T1_lS3_S3_lS3_S3_PKS3_lS3_l.has_dyn_sized_stack, 0
	.set _ZN9rocsolver6v33100L12laswp_kernelIdiPdEEvT0_T1_lS3_S3_lS3_S3_PKS3_lS3_l.has_recursion, 0
	.set _ZN9rocsolver6v33100L12laswp_kernelIdiPdEEvT0_T1_lS3_S3_lS3_S3_PKS3_lS3_l.has_indirect_call, 0
	.section	.AMDGPU.csdata,"",@progbits
; Kernel info:
; codeLenInByte = 468
; TotalNumSgprs: 28
; NumVgprs: 11
; ScratchSize: 0
; MemoryBound: 0
; FloatMode: 240
; IeeeMode: 1
; LDSByteSize: 0 bytes/workgroup (compile time only)
; SGPRBlocks: 3
; VGPRBlocks: 2
; NumSGPRsForWavesPerEU: 28
; NumVGPRsForWavesPerEU: 11
; Occupancy: 10
; WaveLimiterHint : 1
; COMPUTE_PGM_RSRC2:SCRATCH_EN: 0
; COMPUTE_PGM_RSRC2:USER_SGPR: 6
; COMPUTE_PGM_RSRC2:TRAP_HANDLER: 0
; COMPUTE_PGM_RSRC2:TGID_X_EN: 1
; COMPUTE_PGM_RSRC2:TGID_Y_EN: 1
; COMPUTE_PGM_RSRC2:TGID_Z_EN: 0
; COMPUTE_PGM_RSRC2:TIDIG_COMP_CNT: 0
	.section	.text._ZN9rocsolver6v33100L6iota_nI19rocblas_complex_numIfEEEvPT_jS4_,"axG",@progbits,_ZN9rocsolver6v33100L6iota_nI19rocblas_complex_numIfEEEvPT_jS4_,comdat
	.globl	_ZN9rocsolver6v33100L6iota_nI19rocblas_complex_numIfEEEvPT_jS4_ ; -- Begin function _ZN9rocsolver6v33100L6iota_nI19rocblas_complex_numIfEEEvPT_jS4_
	.p2align	8
	.type	_ZN9rocsolver6v33100L6iota_nI19rocblas_complex_numIfEEEvPT_jS4_,@function
_ZN9rocsolver6v33100L6iota_nI19rocblas_complex_numIfEEEvPT_jS4_: ; @_ZN9rocsolver6v33100L6iota_nI19rocblas_complex_numIfEEEvPT_jS4_
; %bb.0:
	s_load_dword s0, s[4:5], 0x8
	s_waitcnt lgkmcnt(0)
	v_cmp_gt_u32_e32 vcc, s0, v0
	s_and_saveexec_b64 s[0:1], vcc
	s_cbranch_execz .LBB17_2
; %bb.1:
	s_load_dwordx2 s[0:1], s[4:5], 0xc
	s_load_dwordx2 s[2:3], s[4:5], 0x0
	v_cvt_f32_ubyte0_e32 v1, v0
	v_lshlrev_b32_e32 v0, 3, v0
	s_waitcnt lgkmcnt(0)
	v_add_f32_e32 v1, s0, v1
	v_add_f32_e64 v2, s1, 0
	global_store_dwordx2 v0, v[1:2], s[2:3]
.LBB17_2:
	s_endpgm
	.section	.rodata,"a",@progbits
	.p2align	6, 0x0
	.amdhsa_kernel _ZN9rocsolver6v33100L6iota_nI19rocblas_complex_numIfEEEvPT_jS4_
		.amdhsa_group_segment_fixed_size 0
		.amdhsa_private_segment_fixed_size 0
		.amdhsa_kernarg_size 20
		.amdhsa_user_sgpr_count 6
		.amdhsa_user_sgpr_private_segment_buffer 1
		.amdhsa_user_sgpr_dispatch_ptr 0
		.amdhsa_user_sgpr_queue_ptr 0
		.amdhsa_user_sgpr_kernarg_segment_ptr 1
		.amdhsa_user_sgpr_dispatch_id 0
		.amdhsa_user_sgpr_flat_scratch_init 0
		.amdhsa_user_sgpr_private_segment_size 0
		.amdhsa_uses_dynamic_stack 0
		.amdhsa_system_sgpr_private_segment_wavefront_offset 0
		.amdhsa_system_sgpr_workgroup_id_x 1
		.amdhsa_system_sgpr_workgroup_id_y 0
		.amdhsa_system_sgpr_workgroup_id_z 0
		.amdhsa_system_sgpr_workgroup_info 0
		.amdhsa_system_vgpr_workitem_id 0
		.amdhsa_next_free_vgpr 3
		.amdhsa_next_free_sgpr 6
		.amdhsa_reserve_vcc 1
		.amdhsa_reserve_flat_scratch 0
		.amdhsa_float_round_mode_32 0
		.amdhsa_float_round_mode_16_64 0
		.amdhsa_float_denorm_mode_32 3
		.amdhsa_float_denorm_mode_16_64 3
		.amdhsa_dx10_clamp 1
		.amdhsa_ieee_mode 1
		.amdhsa_fp16_overflow 0
		.amdhsa_exception_fp_ieee_invalid_op 0
		.amdhsa_exception_fp_denorm_src 0
		.amdhsa_exception_fp_ieee_div_zero 0
		.amdhsa_exception_fp_ieee_overflow 0
		.amdhsa_exception_fp_ieee_underflow 0
		.amdhsa_exception_fp_ieee_inexact 0
		.amdhsa_exception_int_div_zero 0
	.end_amdhsa_kernel
	.section	.text._ZN9rocsolver6v33100L6iota_nI19rocblas_complex_numIfEEEvPT_jS4_,"axG",@progbits,_ZN9rocsolver6v33100L6iota_nI19rocblas_complex_numIfEEEvPT_jS4_,comdat
.Lfunc_end17:
	.size	_ZN9rocsolver6v33100L6iota_nI19rocblas_complex_numIfEEEvPT_jS4_, .Lfunc_end17-_ZN9rocsolver6v33100L6iota_nI19rocblas_complex_numIfEEEvPT_jS4_
                                        ; -- End function
	.set _ZN9rocsolver6v33100L6iota_nI19rocblas_complex_numIfEEEvPT_jS4_.num_vgpr, 3
	.set _ZN9rocsolver6v33100L6iota_nI19rocblas_complex_numIfEEEvPT_jS4_.num_agpr, 0
	.set _ZN9rocsolver6v33100L6iota_nI19rocblas_complex_numIfEEEvPT_jS4_.numbered_sgpr, 6
	.set _ZN9rocsolver6v33100L6iota_nI19rocblas_complex_numIfEEEvPT_jS4_.num_named_barrier, 0
	.set _ZN9rocsolver6v33100L6iota_nI19rocblas_complex_numIfEEEvPT_jS4_.private_seg_size, 0
	.set _ZN9rocsolver6v33100L6iota_nI19rocblas_complex_numIfEEEvPT_jS4_.uses_vcc, 1
	.set _ZN9rocsolver6v33100L6iota_nI19rocblas_complex_numIfEEEvPT_jS4_.uses_flat_scratch, 0
	.set _ZN9rocsolver6v33100L6iota_nI19rocblas_complex_numIfEEEvPT_jS4_.has_dyn_sized_stack, 0
	.set _ZN9rocsolver6v33100L6iota_nI19rocblas_complex_numIfEEEvPT_jS4_.has_recursion, 0
	.set _ZN9rocsolver6v33100L6iota_nI19rocblas_complex_numIfEEEvPT_jS4_.has_indirect_call, 0
	.section	.AMDGPU.csdata,"",@progbits
; Kernel info:
; codeLenInByte = 76
; TotalNumSgprs: 10
; NumVgprs: 3
; ScratchSize: 0
; MemoryBound: 0
; FloatMode: 240
; IeeeMode: 1
; LDSByteSize: 0 bytes/workgroup (compile time only)
; SGPRBlocks: 1
; VGPRBlocks: 0
; NumSGPRsForWavesPerEU: 10
; NumVGPRsForWavesPerEU: 3
; Occupancy: 10
; WaveLimiterHint : 0
; COMPUTE_PGM_RSRC2:SCRATCH_EN: 0
; COMPUTE_PGM_RSRC2:USER_SGPR: 6
; COMPUTE_PGM_RSRC2:TRAP_HANDLER: 0
; COMPUTE_PGM_RSRC2:TGID_X_EN: 1
; COMPUTE_PGM_RSRC2:TGID_Y_EN: 0
; COMPUTE_PGM_RSRC2:TGID_Z_EN: 0
; COMPUTE_PGM_RSRC2:TIDIG_COMP_CNT: 0
	.section	.text._ZN9rocsolver6v33100L17getf2_permut_initI19rocblas_complex_numIfEiEEvT0_PS4_l,"axG",@progbits,_ZN9rocsolver6v33100L17getf2_permut_initI19rocblas_complex_numIfEiEEvT0_PS4_l,comdat
	.globl	_ZN9rocsolver6v33100L17getf2_permut_initI19rocblas_complex_numIfEiEEvT0_PS4_l ; -- Begin function _ZN9rocsolver6v33100L17getf2_permut_initI19rocblas_complex_numIfEiEEvT0_PS4_l
	.p2align	8
	.type	_ZN9rocsolver6v33100L17getf2_permut_initI19rocblas_complex_numIfEiEEvT0_PS4_l,@function
_ZN9rocsolver6v33100L17getf2_permut_initI19rocblas_complex_numIfEiEEvT0_PS4_l: ; @_ZN9rocsolver6v33100L17getf2_permut_initI19rocblas_complex_numIfEiEEvT0_PS4_l
; %bb.0:
	s_load_dword s0, s[4:5], 0x24
	s_load_dword s1, s[4:5], 0x0
	s_waitcnt lgkmcnt(0)
	s_and_b32 s0, s0, 0xffff
	s_mul_i32 s6, s6, s0
	v_add_u32_e32 v0, s6, v0
	v_cmp_gt_i32_e32 vcc, s1, v0
	s_and_saveexec_b64 s[0:1], vcc
	s_cbranch_execz .LBB18_2
; %bb.1:
	s_load_dwordx4 s[0:3], s[4:5], 0x8
	s_ashr_i32 s4, s7, 31
	v_ashrrev_i32_e32 v1, 31, v0
	v_lshlrev_b64 v[1:2], 2, v[0:1]
	s_waitcnt lgkmcnt(0)
	s_mul_hi_u32 s5, s2, s7
	s_mul_i32 s4, s2, s4
	s_mul_i32 s3, s3, s7
	s_add_i32 s4, s5, s4
	s_mul_i32 s2, s2, s7
	s_add_i32 s3, s4, s3
	s_lshl_b64 s[2:3], s[2:3], 2
	s_add_u32 s0, s0, s2
	s_addc_u32 s1, s1, s3
	v_mov_b32_e32 v3, s1
	v_add_co_u32_e32 v1, vcc, s0, v1
	v_addc_co_u32_e32 v2, vcc, v3, v2, vcc
	global_store_dword v[1:2], v0, off
.LBB18_2:
	s_endpgm
	.section	.rodata,"a",@progbits
	.p2align	6, 0x0
	.amdhsa_kernel _ZN9rocsolver6v33100L17getf2_permut_initI19rocblas_complex_numIfEiEEvT0_PS4_l
		.amdhsa_group_segment_fixed_size 0
		.amdhsa_private_segment_fixed_size 0
		.amdhsa_kernarg_size 280
		.amdhsa_user_sgpr_count 6
		.amdhsa_user_sgpr_private_segment_buffer 1
		.amdhsa_user_sgpr_dispatch_ptr 0
		.amdhsa_user_sgpr_queue_ptr 0
		.amdhsa_user_sgpr_kernarg_segment_ptr 1
		.amdhsa_user_sgpr_dispatch_id 0
		.amdhsa_user_sgpr_flat_scratch_init 0
		.amdhsa_user_sgpr_private_segment_size 0
		.amdhsa_uses_dynamic_stack 0
		.amdhsa_system_sgpr_private_segment_wavefront_offset 0
		.amdhsa_system_sgpr_workgroup_id_x 1
		.amdhsa_system_sgpr_workgroup_id_y 1
		.amdhsa_system_sgpr_workgroup_id_z 0
		.amdhsa_system_sgpr_workgroup_info 0
		.amdhsa_system_vgpr_workitem_id 0
		.amdhsa_next_free_vgpr 4
		.amdhsa_next_free_sgpr 8
		.amdhsa_reserve_vcc 1
		.amdhsa_reserve_flat_scratch 0
		.amdhsa_float_round_mode_32 0
		.amdhsa_float_round_mode_16_64 0
		.amdhsa_float_denorm_mode_32 3
		.amdhsa_float_denorm_mode_16_64 3
		.amdhsa_dx10_clamp 1
		.amdhsa_ieee_mode 1
		.amdhsa_fp16_overflow 0
		.amdhsa_exception_fp_ieee_invalid_op 0
		.amdhsa_exception_fp_denorm_src 0
		.amdhsa_exception_fp_ieee_div_zero 0
		.amdhsa_exception_fp_ieee_overflow 0
		.amdhsa_exception_fp_ieee_underflow 0
		.amdhsa_exception_fp_ieee_inexact 0
		.amdhsa_exception_int_div_zero 0
	.end_amdhsa_kernel
	.section	.text._ZN9rocsolver6v33100L17getf2_permut_initI19rocblas_complex_numIfEiEEvT0_PS4_l,"axG",@progbits,_ZN9rocsolver6v33100L17getf2_permut_initI19rocblas_complex_numIfEiEEvT0_PS4_l,comdat
.Lfunc_end18:
	.size	_ZN9rocsolver6v33100L17getf2_permut_initI19rocblas_complex_numIfEiEEvT0_PS4_l, .Lfunc_end18-_ZN9rocsolver6v33100L17getf2_permut_initI19rocblas_complex_numIfEiEEvT0_PS4_l
                                        ; -- End function
	.set _ZN9rocsolver6v33100L17getf2_permut_initI19rocblas_complex_numIfEiEEvT0_PS4_l.num_vgpr, 4
	.set _ZN9rocsolver6v33100L17getf2_permut_initI19rocblas_complex_numIfEiEEvT0_PS4_l.num_agpr, 0
	.set _ZN9rocsolver6v33100L17getf2_permut_initI19rocblas_complex_numIfEiEEvT0_PS4_l.numbered_sgpr, 8
	.set _ZN9rocsolver6v33100L17getf2_permut_initI19rocblas_complex_numIfEiEEvT0_PS4_l.num_named_barrier, 0
	.set _ZN9rocsolver6v33100L17getf2_permut_initI19rocblas_complex_numIfEiEEvT0_PS4_l.private_seg_size, 0
	.set _ZN9rocsolver6v33100L17getf2_permut_initI19rocblas_complex_numIfEiEEvT0_PS4_l.uses_vcc, 1
	.set _ZN9rocsolver6v33100L17getf2_permut_initI19rocblas_complex_numIfEiEEvT0_PS4_l.uses_flat_scratch, 0
	.set _ZN9rocsolver6v33100L17getf2_permut_initI19rocblas_complex_numIfEiEEvT0_PS4_l.has_dyn_sized_stack, 0
	.set _ZN9rocsolver6v33100L17getf2_permut_initI19rocblas_complex_numIfEiEEvT0_PS4_l.has_recursion, 0
	.set _ZN9rocsolver6v33100L17getf2_permut_initI19rocblas_complex_numIfEiEEvT0_PS4_l.has_indirect_call, 0
	.section	.AMDGPU.csdata,"",@progbits
; Kernel info:
; codeLenInByte = 136
; TotalNumSgprs: 12
; NumVgprs: 4
; ScratchSize: 0
; MemoryBound: 0
; FloatMode: 240
; IeeeMode: 1
; LDSByteSize: 0 bytes/workgroup (compile time only)
; SGPRBlocks: 1
; VGPRBlocks: 0
; NumSGPRsForWavesPerEU: 12
; NumVGPRsForWavesPerEU: 4
; Occupancy: 10
; WaveLimiterHint : 0
; COMPUTE_PGM_RSRC2:SCRATCH_EN: 0
; COMPUTE_PGM_RSRC2:USER_SGPR: 6
; COMPUTE_PGM_RSRC2:TRAP_HANDLER: 0
; COMPUTE_PGM_RSRC2:TGID_X_EN: 1
; COMPUTE_PGM_RSRC2:TGID_Y_EN: 1
; COMPUTE_PGM_RSRC2:TGID_Z_EN: 0
; COMPUTE_PGM_RSRC2:TIDIG_COMP_CNT: 0
	.section	.text._ZN9rocsolver6v33100L11getf2_iamaxI19rocblas_complex_numIfEiPS3_EEvT0_T1_lS5_lPS5_,"axG",@progbits,_ZN9rocsolver6v33100L11getf2_iamaxI19rocblas_complex_numIfEiPS3_EEvT0_T1_lS5_lPS5_,comdat
	.globl	_ZN9rocsolver6v33100L11getf2_iamaxI19rocblas_complex_numIfEiPS3_EEvT0_T1_lS5_lPS5_ ; -- Begin function _ZN9rocsolver6v33100L11getf2_iamaxI19rocblas_complex_numIfEiPS3_EEvT0_T1_lS5_lPS5_
	.p2align	8
	.type	_ZN9rocsolver6v33100L11getf2_iamaxI19rocblas_complex_numIfEiPS3_EEvT0_T1_lS5_lPS5_,@function
_ZN9rocsolver6v33100L11getf2_iamaxI19rocblas_complex_numIfEiPS3_EEvT0_T1_lS5_lPS5_: ; @_ZN9rocsolver6v33100L11getf2_iamaxI19rocblas_complex_numIfEiPS3_EEvT0_T1_lS5_lPS5_
; %bb.0:
	s_load_dword s14, s[4:5], 0x0
	s_load_dwordx4 s[8:11], s[4:5], 0x20
	s_mov_b32 s6, s7
	s_ashr_i32 s7, s7, 31
	v_bfrev_b32_e32 v3, -2
	s_waitcnt lgkmcnt(0)
	v_cmp_gt_i32_e32 vcc, s14, v0
	v_mov_b32_e32 v4, 0
	s_and_saveexec_b64 s[12:13], vcc
	s_cbranch_execz .LBB19_4
; %bb.1:
	s_load_dwordx4 s[0:3], s[4:5], 0x8
	s_load_dword s15, s[4:5], 0x18
	s_mul_i32 s4, s8, s7
	s_mul_hi_u32 s5, s8, s6
	s_add_i32 s4, s5, s4
	s_mul_i32 s5, s9, s6
	s_add_i32 s5, s4, s5
	s_mul_i32 s4, s8, s6
	s_lshl_b64 s[4:5], s[4:5], 3
	s_waitcnt lgkmcnt(0)
	s_add_u32 s4, s0, s4
	s_addc_u32 s5, s1, s5
	s_lshl_b64 s[0:1], s[2:3], 3
	v_mul_lo_u32 v1, v0, s15
	s_add_u32 s8, s4, s0
	s_addc_u32 s0, s5, s1
	s_lshl_b32 s9, s15, 10
	v_bfrev_b32_e32 v3, -2
	v_mov_b32_e32 v4, 0
	s_mov_b64 s[4:5], 0
	v_mov_b32_e32 v5, s0
	s_brev_b32 s15, -2
	v_mov_b32_e32 v6, v0
.LBB19_2:                               ; =>This Inner Loop Header: Depth=1
	v_ashrrev_i32_e32 v2, 31, v1
	v_lshlrev_b64 v[7:8], 3, v[1:2]
	v_add_u32_e32 v2, 1, v6
	v_add_co_u32_e32 v7, vcc, s8, v7
	v_addc_co_u32_e32 v8, vcc, v5, v8, vcc
	global_load_dwordx2 v[7:8], v[7:8], off
	v_cmp_eq_u32_e32 vcc, s15, v3
	v_add_u32_e32 v6, 0x400, v6
	v_cmp_le_i32_e64 s[0:1], s14, v6
	v_add_u32_e32 v1, s9, v1
	s_waitcnt vmcnt(0)
	v_cmp_gt_f32_e64 s[2:3], 0, v7
	v_cndmask_b32_e64 v7, v7, -v7, s[2:3]
	v_cmp_gt_f32_e64 s[2:3], 0, v8
	v_cndmask_b32_e64 v8, v8, -v8, s[2:3]
	v_add_f32_e32 v7, v7, v8
	v_cmp_lt_f32_e64 s[2:3], v4, v7
	s_or_b64 vcc, s[2:3], vcc
	v_cndmask_b32_e32 v3, v3, v2, vcc
	s_or_b64 s[4:5], s[0:1], s[4:5]
	v_cndmask_b32_e32 v4, v4, v7, vcc
	s_andn2_b64 exec, exec, s[4:5]
	s_cbranch_execnz .LBB19_2
; %bb.3:
	s_or_b64 exec, exec, s[4:5]
.LBB19_4:
	s_or_b64 exec, exec, s[12:13]
	v_lshlrev_b32_e32 v1, 2, v0
	s_cmp_lt_i32 s14, 2
	ds_write2st64_b32 v1, v3, v4 offset1:16
	s_waitcnt lgkmcnt(0)
	s_barrier
	s_cbranch_scc0 .LBB19_7
; %bb.5:
	v_cmp_eq_u32_e32 vcc, 0, v0
	s_and_saveexec_b64 s[0:1], vcc
	s_cbranch_execnz .LBB19_53
.LBB19_6:
	s_endpgm
.LBB19_7:
	s_movk_i32 s0, 0x200
	v_or_b32_e32 v2, 0x1000, v1
	v_cmp_gt_u32_e32 vcc, s0, v0
	s_and_saveexec_b64 s[2:3], vcc
	s_cbranch_execz .LBB19_13
; %bb.8:
	ds_read_b32 v5, v2 offset:2048
	ds_read_b32 v6, v1 offset:2048
	s_waitcnt lgkmcnt(1)
	v_cmp_lt_f32_e64 s[4:5], v4, v5
	v_cmp_nlt_f32_e32 vcc, v4, v5
	s_and_saveexec_b64 s[8:9], vcc
	s_cbranch_execz .LBB19_10
; %bb.9:
	v_cmp_eq_f32_e32 vcc, v4, v5
	s_waitcnt lgkmcnt(0)
	v_cmp_gt_i32_e64 s[0:1], v3, v6
	s_and_b64 s[0:1], vcc, s[0:1]
	s_andn2_b64 s[4:5], s[4:5], exec
	s_and_b64 s[0:1], s[0:1], exec
	s_or_b64 s[4:5], s[4:5], s[0:1]
.LBB19_10:
	s_or_b64 exec, exec, s[8:9]
	s_and_saveexec_b64 s[0:1], s[4:5]
	s_cbranch_execz .LBB19_12
; %bb.11:
	v_mov_b32_e32 v4, v5
	s_waitcnt lgkmcnt(0)
	v_mov_b32_e32 v3, v6
	ds_write_b32 v2, v5
	ds_write_b32 v1, v6
.LBB19_12:
	s_or_b64 exec, exec, s[0:1]
.LBB19_13:
	s_or_b64 exec, exec, s[2:3]
	s_movk_i32 s0, 0x100
	v_cmp_gt_u32_e32 vcc, s0, v0
	s_waitcnt lgkmcnt(0)
	s_barrier
	s_and_saveexec_b64 s[2:3], vcc
	s_cbranch_execz .LBB19_19
; %bb.14:
	ds_read_b32 v5, v2 offset:1024
	ds_read_b32 v6, v1 offset:1024
	s_waitcnt lgkmcnt(1)
	v_cmp_lt_f32_e64 s[4:5], v4, v5
	v_cmp_nlt_f32_e32 vcc, v4, v5
	s_and_saveexec_b64 s[8:9], vcc
	s_cbranch_execz .LBB19_16
; %bb.15:
	v_cmp_eq_f32_e32 vcc, v4, v5
	s_waitcnt lgkmcnt(0)
	v_cmp_gt_i32_e64 s[0:1], v3, v6
	s_and_b64 s[0:1], vcc, s[0:1]
	s_andn2_b64 s[4:5], s[4:5], exec
	s_and_b64 s[0:1], s[0:1], exec
	s_or_b64 s[4:5], s[4:5], s[0:1]
.LBB19_16:
	s_or_b64 exec, exec, s[8:9]
	s_and_saveexec_b64 s[0:1], s[4:5]
	s_cbranch_execz .LBB19_18
; %bb.17:
	v_mov_b32_e32 v4, v5
	s_waitcnt lgkmcnt(0)
	v_mov_b32_e32 v3, v6
	ds_write_b32 v2, v5
	ds_write_b32 v1, v6
.LBB19_18:
	s_or_b64 exec, exec, s[0:1]
.LBB19_19:
	s_or_b64 exec, exec, s[2:3]
	s_movk_i32 s0, 0x80
	v_cmp_gt_u32_e32 vcc, s0, v0
	s_waitcnt lgkmcnt(0)
	s_barrier
	s_and_saveexec_b64 s[2:3], vcc
	s_cbranch_execz .LBB19_25
; %bb.20:
	ds_read_b32 v5, v2 offset:512
	ds_read_b32 v6, v1 offset:512
	s_waitcnt lgkmcnt(1)
	v_cmp_lt_f32_e64 s[4:5], v4, v5
	v_cmp_nlt_f32_e32 vcc, v4, v5
	s_and_saveexec_b64 s[8:9], vcc
	s_cbranch_execz .LBB19_22
; %bb.21:
	v_cmp_eq_f32_e32 vcc, v4, v5
	s_waitcnt lgkmcnt(0)
	v_cmp_gt_i32_e64 s[0:1], v3, v6
	s_and_b64 s[0:1], vcc, s[0:1]
	s_andn2_b64 s[4:5], s[4:5], exec
	s_and_b64 s[0:1], s[0:1], exec
	s_or_b64 s[4:5], s[4:5], s[0:1]
.LBB19_22:
	s_or_b64 exec, exec, s[8:9]
	s_and_saveexec_b64 s[0:1], s[4:5]
	s_cbranch_execz .LBB19_24
; %bb.23:
	v_mov_b32_e32 v4, v5
	s_waitcnt lgkmcnt(0)
	v_mov_b32_e32 v3, v6
	ds_write_b32 v2, v5
	ds_write_b32 v1, v6
.LBB19_24:
	s_or_b64 exec, exec, s[0:1]
.LBB19_25:
	s_or_b64 exec, exec, s[2:3]
	v_cmp_gt_u32_e32 vcc, 64, v0
	s_waitcnt lgkmcnt(0)
	s_barrier
	s_and_saveexec_b64 s[4:5], vcc
	s_cbranch_execz .LBB19_52
; %bb.26:
	ds_read_b32 v5, v2 offset:256
	ds_read_b32 v6, v1 offset:256
	s_waitcnt lgkmcnt(1)
	v_cmp_lt_f32_e64 s[2:3], v4, v5
	v_cmp_nlt_f32_e32 vcc, v4, v5
	s_and_saveexec_b64 s[8:9], vcc
	s_cbranch_execz .LBB19_28
; %bb.27:
	v_cmp_eq_f32_e32 vcc, v4, v5
	s_waitcnt lgkmcnt(0)
	v_cmp_gt_i32_e64 s[0:1], v3, v6
	s_and_b64 s[0:1], vcc, s[0:1]
	s_andn2_b64 s[2:3], s[2:3], exec
	s_and_b64 s[0:1], s[0:1], exec
	s_or_b64 s[2:3], s[2:3], s[0:1]
.LBB19_28:
	s_or_b64 exec, exec, s[8:9]
	s_and_saveexec_b64 s[0:1], s[2:3]
	s_cbranch_execz .LBB19_30
; %bb.29:
	s_waitcnt lgkmcnt(0)
	v_mov_b32_e32 v3, v6
	v_mov_b32_e32 v4, v5
	ds_write_b32 v2, v5
	ds_write_b32 v1, v6
.LBB19_30:
	s_or_b64 exec, exec, s[0:1]
	ds_read_b32 v5, v2 offset:128
	s_waitcnt lgkmcnt(1)
	ds_read_b32 v6, v1 offset:128
	s_waitcnt lgkmcnt(1)
	v_cmp_lt_f32_e64 s[2:3], v4, v5
	v_cmp_nlt_f32_e32 vcc, v4, v5
	s_and_saveexec_b64 s[8:9], vcc
	s_cbranch_execz .LBB19_32
; %bb.31:
	v_cmp_eq_f32_e32 vcc, v4, v5
	s_waitcnt lgkmcnt(0)
	v_cmp_gt_i32_e64 s[0:1], v3, v6
	s_and_b64 s[0:1], vcc, s[0:1]
	s_andn2_b64 s[2:3], s[2:3], exec
	s_and_b64 s[0:1], s[0:1], exec
	s_or_b64 s[2:3], s[2:3], s[0:1]
.LBB19_32:
	s_or_b64 exec, exec, s[8:9]
	s_and_saveexec_b64 s[0:1], s[2:3]
	s_cbranch_execz .LBB19_34
; %bb.33:
	s_waitcnt lgkmcnt(0)
	v_mov_b32_e32 v3, v6
	v_mov_b32_e32 v4, v5
	ds_write_b32 v2, v5
	ds_write_b32 v1, v6
.LBB19_34:
	s_or_b64 exec, exec, s[0:1]
	ds_read_b32 v5, v2 offset:64
	s_waitcnt lgkmcnt(1)
	;; [unrolled: 28-line block ×6, first 2 shown]
	ds_read_b32 v6, v1 offset:4
	s_waitcnt lgkmcnt(1)
	v_cmp_eq_f32_e64 s[0:1], v4, v5
	s_waitcnt lgkmcnt(0)
	v_cmp_gt_i32_e64 s[2:3], v3, v6
	v_cmp_lt_f32_e32 vcc, v4, v5
	s_and_b64 s[0:1], s[0:1], s[2:3]
	s_or_b64 s[0:1], vcc, s[0:1]
	s_and_b64 exec, exec, s[0:1]
	s_cbranch_execz .LBB19_52
; %bb.51:
	ds_write_b32 v2, v5
	ds_write_b32 v1, v6
.LBB19_52:
	s_or_b64 exec, exec, s[4:5]
	v_cmp_eq_u32_e32 vcc, 0, v0
	s_and_saveexec_b64 s[0:1], vcc
	s_cbranch_execz .LBB19_6
.LBB19_53:
	v_mov_b32_e32 v0, 0
	ds_read_b32 v1, v0
	s_lshl_b64 s[0:1], s[6:7], 2
	s_add_u32 s0, s10, s0
	s_addc_u32 s1, s11, s1
	s_waitcnt lgkmcnt(0)
	global_store_dword v0, v1, s[0:1]
	s_endpgm
	.section	.rodata,"a",@progbits
	.p2align	6, 0x0
	.amdhsa_kernel _ZN9rocsolver6v33100L11getf2_iamaxI19rocblas_complex_numIfEiPS3_EEvT0_T1_lS5_lPS5_
		.amdhsa_group_segment_fixed_size 8192
		.amdhsa_private_segment_fixed_size 0
		.amdhsa_kernarg_size 48
		.amdhsa_user_sgpr_count 6
		.amdhsa_user_sgpr_private_segment_buffer 1
		.amdhsa_user_sgpr_dispatch_ptr 0
		.amdhsa_user_sgpr_queue_ptr 0
		.amdhsa_user_sgpr_kernarg_segment_ptr 1
		.amdhsa_user_sgpr_dispatch_id 0
		.amdhsa_user_sgpr_flat_scratch_init 0
		.amdhsa_user_sgpr_private_segment_size 0
		.amdhsa_uses_dynamic_stack 0
		.amdhsa_system_sgpr_private_segment_wavefront_offset 0
		.amdhsa_system_sgpr_workgroup_id_x 1
		.amdhsa_system_sgpr_workgroup_id_y 1
		.amdhsa_system_sgpr_workgroup_id_z 0
		.amdhsa_system_sgpr_workgroup_info 0
		.amdhsa_system_vgpr_workitem_id 0
		.amdhsa_next_free_vgpr 29
		.amdhsa_next_free_sgpr 61
		.amdhsa_reserve_vcc 1
		.amdhsa_reserve_flat_scratch 0
		.amdhsa_float_round_mode_32 0
		.amdhsa_float_round_mode_16_64 0
		.amdhsa_float_denorm_mode_32 3
		.amdhsa_float_denorm_mode_16_64 3
		.amdhsa_dx10_clamp 1
		.amdhsa_ieee_mode 1
		.amdhsa_fp16_overflow 0
		.amdhsa_exception_fp_ieee_invalid_op 0
		.amdhsa_exception_fp_denorm_src 0
		.amdhsa_exception_fp_ieee_div_zero 0
		.amdhsa_exception_fp_ieee_overflow 0
		.amdhsa_exception_fp_ieee_underflow 0
		.amdhsa_exception_fp_ieee_inexact 0
		.amdhsa_exception_int_div_zero 0
	.end_amdhsa_kernel
	.section	.text._ZN9rocsolver6v33100L11getf2_iamaxI19rocblas_complex_numIfEiPS3_EEvT0_T1_lS5_lPS5_,"axG",@progbits,_ZN9rocsolver6v33100L11getf2_iamaxI19rocblas_complex_numIfEiPS3_EEvT0_T1_lS5_lPS5_,comdat
.Lfunc_end19:
	.size	_ZN9rocsolver6v33100L11getf2_iamaxI19rocblas_complex_numIfEiPS3_EEvT0_T1_lS5_lPS5_, .Lfunc_end19-_ZN9rocsolver6v33100L11getf2_iamaxI19rocblas_complex_numIfEiPS3_EEvT0_T1_lS5_lPS5_
                                        ; -- End function
	.set _ZN9rocsolver6v33100L11getf2_iamaxI19rocblas_complex_numIfEiPS3_EEvT0_T1_lS5_lPS5_.num_vgpr, 9
	.set _ZN9rocsolver6v33100L11getf2_iamaxI19rocblas_complex_numIfEiPS3_EEvT0_T1_lS5_lPS5_.num_agpr, 0
	.set _ZN9rocsolver6v33100L11getf2_iamaxI19rocblas_complex_numIfEiPS3_EEvT0_T1_lS5_lPS5_.numbered_sgpr, 16
	.set _ZN9rocsolver6v33100L11getf2_iamaxI19rocblas_complex_numIfEiPS3_EEvT0_T1_lS5_lPS5_.num_named_barrier, 0
	.set _ZN9rocsolver6v33100L11getf2_iamaxI19rocblas_complex_numIfEiPS3_EEvT0_T1_lS5_lPS5_.private_seg_size, 0
	.set _ZN9rocsolver6v33100L11getf2_iamaxI19rocblas_complex_numIfEiPS3_EEvT0_T1_lS5_lPS5_.uses_vcc, 1
	.set _ZN9rocsolver6v33100L11getf2_iamaxI19rocblas_complex_numIfEiPS3_EEvT0_T1_lS5_lPS5_.uses_flat_scratch, 0
	.set _ZN9rocsolver6v33100L11getf2_iamaxI19rocblas_complex_numIfEiPS3_EEvT0_T1_lS5_lPS5_.has_dyn_sized_stack, 0
	.set _ZN9rocsolver6v33100L11getf2_iamaxI19rocblas_complex_numIfEiPS3_EEvT0_T1_lS5_lPS5_.has_recursion, 0
	.set _ZN9rocsolver6v33100L11getf2_iamaxI19rocblas_complex_numIfEiPS3_EEvT0_T1_lS5_lPS5_.has_indirect_call, 0
	.section	.AMDGPU.csdata,"",@progbits
; Kernel info:
; codeLenInByte = 1636
; TotalNumSgprs: 20
; NumVgprs: 9
; ScratchSize: 0
; MemoryBound: 0
; FloatMode: 240
; IeeeMode: 1
; LDSByteSize: 8192 bytes/workgroup (compile time only)
; SGPRBlocks: 8
; VGPRBlocks: 7
; NumSGPRsForWavesPerEU: 65
; NumVGPRsForWavesPerEU: 29
; Occupancy: 8
; WaveLimiterHint : 0
; COMPUTE_PGM_RSRC2:SCRATCH_EN: 0
; COMPUTE_PGM_RSRC2:USER_SGPR: 6
; COMPUTE_PGM_RSRC2:TRAP_HANDLER: 0
; COMPUTE_PGM_RSRC2:TGID_X_EN: 1
; COMPUTE_PGM_RSRC2:TGID_Y_EN: 1
; COMPUTE_PGM_RSRC2:TGID_Z_EN: 0
; COMPUTE_PGM_RSRC2:TIDIG_COMP_CNT: 0
	.section	.text._ZN9rocsolver6v33100L23getf2_check_singularityI19rocblas_complex_numIfEiiPS3_EEvT0_S5_T2_lS5_S5_lPS5_llPT_S7_PT1_S5_S7_l,"axG",@progbits,_ZN9rocsolver6v33100L23getf2_check_singularityI19rocblas_complex_numIfEiiPS3_EEvT0_S5_T2_lS5_S5_lPS5_llPT_S7_PT1_S5_S7_l,comdat
	.globl	_ZN9rocsolver6v33100L23getf2_check_singularityI19rocblas_complex_numIfEiiPS3_EEvT0_S5_T2_lS5_S5_lPS5_llPT_S7_PT1_S5_S7_l ; -- Begin function _ZN9rocsolver6v33100L23getf2_check_singularityI19rocblas_complex_numIfEiiPS3_EEvT0_S5_T2_lS5_S5_lPS5_llPT_S7_PT1_S5_S7_l
	.p2align	8
	.type	_ZN9rocsolver6v33100L23getf2_check_singularityI19rocblas_complex_numIfEiiPS3_EEvT0_S5_T2_lS5_S5_lPS5_llPT_S7_PT1_S5_S7_l,@function
_ZN9rocsolver6v33100L23getf2_check_singularityI19rocblas_complex_numIfEiiPS3_EEvT0_S5_T2_lS5_S5_lPS5_llPT_S7_PT1_S5_S7_l: ; @_ZN9rocsolver6v33100L23getf2_check_singularityI19rocblas_complex_numIfEiiPS3_EEvT0_S5_T2_lS5_S5_lPS5_llPT_S7_PT1_S5_S7_l
; %bb.0:
	s_load_dword s0, s[4:5], 0x7c
	s_load_dwordx2 s[24:25], s[4:5], 0x0
	s_waitcnt lgkmcnt(0)
	s_and_b32 s0, s0, 0xffff
	s_mul_i32 s6, s6, s0
	v_add_u32_e32 v0, s6, v0
	v_cmp_gt_i32_e32 vcc, s24, v0
	s_and_saveexec_b64 s[0:1], vcc
	s_cbranch_execz .LBB20_14
; %bb.1:
	s_load_dwordx8 s[8:15], s[4:5], 0x20
	s_load_dwordx4 s[0:3], s[4:5], 0x8
	s_load_dwordx2 s[28:29], s[4:5], 0x18
	s_load_dwordx4 s[16:19], s[4:5], 0x40
	s_ashr_i32 s27, s7, 31
	s_mov_b32 s26, s7
	s_waitcnt lgkmcnt(0)
	s_mul_hi_u32 s6, s8, s7
	s_mul_i32 s7, s8, s27
	s_add_i32 s6, s6, s7
	s_mul_i32 s7, s9, s26
	s_add_i32 s7, s6, s7
	s_mul_i32 s6, s8, s26
	s_lshl_b64 s[6:7], s[6:7], 3
	s_add_u32 s6, s0, s6
	s_addc_u32 s7, s1, s7
	s_lshl_b64 s[0:1], s[2:3], 3
	s_add_u32 s24, s6, s0
	s_addc_u32 s30, s7, s1
	;; [unrolled: 3-line block ×3, first 2 shown]
	s_load_dword s8, s[0:1], 0x0
	s_waitcnt lgkmcnt(0)
	s_add_i32 s9, s8, s25
	s_add_i32 s0, s9, -1
	s_cmp_eq_u32 s0, s25
	s_cselect_b64 s[18:19], -1, 0
	s_and_b64 vcc, exec, s[18:19]
	s_cbranch_vccnz .LBB20_3
; %bb.2:
	v_mul_lo_u32 v3, v0, s29
	s_mul_i32 s1, s28, s25
	s_mul_i32 s0, s0, s28
	v_mov_b32_e32 v4, s30
	v_add_u32_e32 v1, s1, v3
	v_ashrrev_i32_e32 v2, 31, v1
	v_lshlrev_b64 v[1:2], 3, v[1:2]
	v_add_u32_e32 v3, s0, v3
	v_add_co_u32_e32 v1, vcc, s24, v1
	v_addc_co_u32_e32 v2, vcc, v4, v2, vcc
	v_ashrrev_i32_e32 v4, 31, v3
	v_lshlrev_b64 v[3:4], 3, v[3:4]
	v_mov_b32_e32 v5, s30
	v_add_co_u32_e32 v3, vcc, s24, v3
	v_addc_co_u32_e32 v4, vcc, v5, v4, vcc
	global_load_dwordx2 v[5:6], v[3:4], off
	global_load_dwordx2 v[7:8], v[1:2], off
	s_waitcnt vmcnt(1)
	global_store_dwordx2 v[1:2], v[5:6], off
	s_waitcnt vmcnt(1)
	global_store_dwordx2 v[3:4], v[7:8], off
.LBB20_3:
	v_cmp_eq_u32_e32 vcc, s25, v0
	s_and_b64 exec, exec, vcc
	s_cbranch_execz .LBB20_14
; %bb.4:
	s_load_dwordx4 s[20:23], s[4:5], 0x50
	s_waitcnt lgkmcnt(0)
	s_load_dword s22, s[4:5], 0x58
	s_load_dwordx4 s[0:3], s[4:5], 0x60
	s_mul_i32 s4, s14, s27
	s_mul_hi_u32 s5, s14, s26
	s_add_i32 s4, s5, s4
	s_mul_i32 s5, s15, s26
	s_add_i32 s5, s4, s5
	s_mul_i32 s4, s14, s26
	s_lshl_b64 s[4:5], s[4:5], 2
	s_add_u32 s10, s10, s4
	s_addc_u32 s11, s11, s5
	s_lshl_b64 s[4:5], s[12:13], 2
	s_add_u32 s10, s10, s4
	s_addc_u32 s11, s11, s5
	s_ashr_i32 s5, s25, 31
	s_mov_b32 s4, s25
	s_waitcnt lgkmcnt(0)
	s_add_i32 s9, s9, s22
	s_lshl_b64 s[4:5], s[4:5], 2
	s_add_u32 s10, s10, s4
	s_addc_u32 s11, s11, s5
	v_mov_b32_e32 v0, 0
	v_mov_b32_e32 v1, s9
	s_cmp_eq_u64 s[0:1], 0
	global_store_dword v0, v1, s[10:11]
	s_cselect_b64 s[10:11], -1, 0
	s_or_b64 s[10:11], s[10:11], s[18:19]
	s_and_b64 vcc, exec, s[10:11]
	s_cbranch_vccnz .LBB20_6
; %bb.5:
	s_mul_i32 s9, s2, s27
	s_mul_hi_u32 s10, s2, s26
	s_add_i32 s9, s10, s9
	s_mul_i32 s3, s3, s26
	s_add_i32 s3, s9, s3
	s_mul_i32 s2, s2, s26
	s_lshl_b64 s[2:3], s[2:3], 2
	s_add_u32 s0, s0, s2
	s_addc_u32 s1, s1, s3
	s_add_u32 s0, s0, s4
	s_addc_u32 s1, s1, s5
	s_ashr_i32 s9, s8, 31
	s_lshl_b64 s[2:3], s[8:9], 2
	s_add_u32 s2, s0, s2
	s_addc_u32 s3, s1, s3
	global_load_dword v1, v0, s[2:3] offset:-4
	global_load_dword v2, v0, s[0:1]
	s_waitcnt vmcnt(1)
	global_store_dword v0, v1, s[0:1]
	s_waitcnt vmcnt(1)
	global_store_dword v0, v2, s[2:3] offset:-4
.LBB20_6:
	s_add_i32 s0, s29, s28
	s_mul_i32 s0, s0, s25
	s_ashr_i32 s1, s0, 31
	s_lshl_b64 s[0:1], s[0:1], 3
	s_add_u32 s0, s24, s0
	s_addc_u32 s1, s30, s1
	global_load_dwordx2 v[0:1], v0, s[0:1]
	s_waitcnt vmcnt(0)
	v_cmp_eq_f32_e32 vcc, 0, v0
	v_cmp_eq_f32_e64 s[0:1], 0, v1
	s_and_b64 s[0:1], vcc, s[0:1]
	s_andn2_b64 vcc, exec, s[0:1]
	s_mov_b64 s[0:1], -1
	s_cbranch_vccz .LBB20_12
; %bb.7:
	v_cmp_ngt_f32_e64 s[0:1], |v0|, |v1|
	s_and_b64 vcc, exec, s[0:1]
	s_cbranch_vccz .LBB20_9
; %bb.8:
	v_div_scale_f32 v2, s[0:1], v1, v1, v0
	v_div_scale_f32 v3, vcc, v0, v1, v0
	v_rcp_f32_e32 v4, v2
	v_fma_f32 v5, -v2, v4, 1.0
	v_fmac_f32_e32 v4, v5, v4
	v_mul_f32_e32 v5, v3, v4
	v_fma_f32 v6, -v2, v5, v3
	v_fmac_f32_e32 v5, v6, v4
	v_fma_f32 v2, -v2, v5, v3
	v_div_fmas_f32 v2, v2, v4, v5
	v_div_fixup_f32 v2, v2, v1, v0
	v_fma_f32 v3, v0, v2, v1
	v_div_scale_f32 v4, s[0:1], v3, v3, 1.0
	v_div_scale_f32 v5, vcc, 1.0, v3, 1.0
	v_rcp_f32_e32 v6, v4
	v_fma_f32 v7, -v4, v6, 1.0
	v_fmac_f32_e32 v6, v7, v6
	v_mul_f32_e32 v7, v5, v6
	v_fma_f32 v8, -v4, v7, v5
	v_fmac_f32_e32 v7, v8, v6
	v_fma_f32 v4, -v4, v7, v5
	v_div_fmas_f32 v4, v4, v6, v7
	v_div_fixup_f32 v3, v4, v3, 1.0
	v_mul_f32_e32 v2, v2, v3
	v_xor_b32_e32 v3, 0x80000000, v3
	s_cbranch_execz .LBB20_10
	s_branch .LBB20_11
.LBB20_9:
                                        ; implicit-def: $vgpr2
.LBB20_10:
	v_div_scale_f32 v2, s[0:1], v0, v0, v1
	v_div_scale_f32 v3, vcc, v1, v0, v1
	v_rcp_f32_e32 v4, v2
	v_fma_f32 v5, -v2, v4, 1.0
	v_fmac_f32_e32 v4, v5, v4
	v_mul_f32_e32 v5, v3, v4
	v_fma_f32 v6, -v2, v5, v3
	v_fmac_f32_e32 v5, v6, v4
	v_fma_f32 v2, -v2, v5, v3
	v_div_fmas_f32 v2, v2, v4, v5
	v_div_fixup_f32 v3, v2, v0, v1
	v_fmac_f32_e32 v0, v1, v3
	v_div_scale_f32 v1, s[0:1], v0, v0, 1.0
	v_div_scale_f32 v2, vcc, 1.0, v0, 1.0
	v_rcp_f32_e32 v4, v1
	v_fma_f32 v5, -v1, v4, 1.0
	v_fmac_f32_e32 v4, v5, v4
	v_mul_f32_e32 v5, v2, v4
	v_fma_f32 v6, -v1, v5, v2
	v_fmac_f32_e32 v5, v6, v4
	v_fma_f32 v1, -v1, v5, v2
	v_div_fmas_f32 v1, v1, v4, v5
	v_div_fixup_f32 v2, v1, v0, 1.0
	v_mul_f32_e64 v3, v3, -v2
.LBB20_11:
	s_lshl_b64 s[0:1], s[26:27], 3
	s_add_u32 s0, s16, s0
	s_addc_u32 s1, s17, s1
	v_mov_b32_e32 v0, 0
	global_store_dwordx2 v0, v[2:3], s[0:1]
	s_mov_b64 s[0:1], 0
.LBB20_12:
	s_and_b64 vcc, exec, s[0:1]
	s_cbranch_vccz .LBB20_14
; %bb.13:
	s_lshl_b64 s[0:1], s[26:27], 3
	s_add_u32 s0, s16, s0
	s_addc_u32 s1, s17, s1
	v_mov_b32_e32 v1, 0
	v_mov_b32_e32 v0, 1.0
	global_store_dwordx2 v1, v[0:1], s[0:1]
	s_add_u32 s0, s20, s6
	s_addc_u32 s1, s21, s7
	global_load_dword v0, v1, s[0:1]
	s_waitcnt vmcnt(0)
	v_cmp_ne_u32_e32 vcc, 0, v0
	s_cbranch_vccz .LBB20_15
.LBB20_14:
	s_endpgm
.LBB20_15:
	s_add_i32 s2, s25, s22
	s_add_i32 s2, s2, 1
	v_mov_b32_e32 v0, s2
	global_store_dword v1, v0, s[0:1]
	s_endpgm
	.section	.rodata,"a",@progbits
	.p2align	6, 0x0
	.amdhsa_kernel _ZN9rocsolver6v33100L23getf2_check_singularityI19rocblas_complex_numIfEiiPS3_EEvT0_S5_T2_lS5_S5_lPS5_llPT_S7_PT1_S5_S7_l
		.amdhsa_group_segment_fixed_size 0
		.amdhsa_private_segment_fixed_size 0
		.amdhsa_kernarg_size 368
		.amdhsa_user_sgpr_count 6
		.amdhsa_user_sgpr_private_segment_buffer 1
		.amdhsa_user_sgpr_dispatch_ptr 0
		.amdhsa_user_sgpr_queue_ptr 0
		.amdhsa_user_sgpr_kernarg_segment_ptr 1
		.amdhsa_user_sgpr_dispatch_id 0
		.amdhsa_user_sgpr_flat_scratch_init 0
		.amdhsa_user_sgpr_private_segment_size 0
		.amdhsa_uses_dynamic_stack 0
		.amdhsa_system_sgpr_private_segment_wavefront_offset 0
		.amdhsa_system_sgpr_workgroup_id_x 1
		.amdhsa_system_sgpr_workgroup_id_y 1
		.amdhsa_system_sgpr_workgroup_id_z 0
		.amdhsa_system_sgpr_workgroup_info 0
		.amdhsa_system_vgpr_workitem_id 0
		.amdhsa_next_free_vgpr 9
		.amdhsa_next_free_sgpr 31
		.amdhsa_reserve_vcc 1
		.amdhsa_reserve_flat_scratch 0
		.amdhsa_float_round_mode_32 0
		.amdhsa_float_round_mode_16_64 0
		.amdhsa_float_denorm_mode_32 3
		.amdhsa_float_denorm_mode_16_64 3
		.amdhsa_dx10_clamp 1
		.amdhsa_ieee_mode 1
		.amdhsa_fp16_overflow 0
		.amdhsa_exception_fp_ieee_invalid_op 0
		.amdhsa_exception_fp_denorm_src 0
		.amdhsa_exception_fp_ieee_div_zero 0
		.amdhsa_exception_fp_ieee_overflow 0
		.amdhsa_exception_fp_ieee_underflow 0
		.amdhsa_exception_fp_ieee_inexact 0
		.amdhsa_exception_int_div_zero 0
	.end_amdhsa_kernel
	.section	.text._ZN9rocsolver6v33100L23getf2_check_singularityI19rocblas_complex_numIfEiiPS3_EEvT0_S5_T2_lS5_S5_lPS5_llPT_S7_PT1_S5_S7_l,"axG",@progbits,_ZN9rocsolver6v33100L23getf2_check_singularityI19rocblas_complex_numIfEiiPS3_EEvT0_S5_T2_lS5_S5_lPS5_llPT_S7_PT1_S5_S7_l,comdat
.Lfunc_end20:
	.size	_ZN9rocsolver6v33100L23getf2_check_singularityI19rocblas_complex_numIfEiiPS3_EEvT0_S5_T2_lS5_S5_lPS5_llPT_S7_PT1_S5_S7_l, .Lfunc_end20-_ZN9rocsolver6v33100L23getf2_check_singularityI19rocblas_complex_numIfEiiPS3_EEvT0_S5_T2_lS5_S5_lPS5_llPT_S7_PT1_S5_S7_l
                                        ; -- End function
	.set _ZN9rocsolver6v33100L23getf2_check_singularityI19rocblas_complex_numIfEiiPS3_EEvT0_S5_T2_lS5_S5_lPS5_llPT_S7_PT1_S5_S7_l.num_vgpr, 9
	.set _ZN9rocsolver6v33100L23getf2_check_singularityI19rocblas_complex_numIfEiiPS3_EEvT0_S5_T2_lS5_S5_lPS5_llPT_S7_PT1_S5_S7_l.num_agpr, 0
	.set _ZN9rocsolver6v33100L23getf2_check_singularityI19rocblas_complex_numIfEiiPS3_EEvT0_S5_T2_lS5_S5_lPS5_llPT_S7_PT1_S5_S7_l.numbered_sgpr, 31
	.set _ZN9rocsolver6v33100L23getf2_check_singularityI19rocblas_complex_numIfEiiPS3_EEvT0_S5_T2_lS5_S5_lPS5_llPT_S7_PT1_S5_S7_l.num_named_barrier, 0
	.set _ZN9rocsolver6v33100L23getf2_check_singularityI19rocblas_complex_numIfEiiPS3_EEvT0_S5_T2_lS5_S5_lPS5_llPT_S7_PT1_S5_S7_l.private_seg_size, 0
	.set _ZN9rocsolver6v33100L23getf2_check_singularityI19rocblas_complex_numIfEiiPS3_EEvT0_S5_T2_lS5_S5_lPS5_llPT_S7_PT1_S5_S7_l.uses_vcc, 1
	.set _ZN9rocsolver6v33100L23getf2_check_singularityI19rocblas_complex_numIfEiiPS3_EEvT0_S5_T2_lS5_S5_lPS5_llPT_S7_PT1_S5_S7_l.uses_flat_scratch, 0
	.set _ZN9rocsolver6v33100L23getf2_check_singularityI19rocblas_complex_numIfEiiPS3_EEvT0_S5_T2_lS5_S5_lPS5_llPT_S7_PT1_S5_S7_l.has_dyn_sized_stack, 0
	.set _ZN9rocsolver6v33100L23getf2_check_singularityI19rocblas_complex_numIfEiiPS3_EEvT0_S5_T2_lS5_S5_lPS5_llPT_S7_PT1_S5_S7_l.has_recursion, 0
	.set _ZN9rocsolver6v33100L23getf2_check_singularityI19rocblas_complex_numIfEiiPS3_EEvT0_S5_T2_lS5_S5_lPS5_llPT_S7_PT1_S5_S7_l.has_indirect_call, 0
	.section	.AMDGPU.csdata,"",@progbits
; Kernel info:
; codeLenInByte = 1080
; TotalNumSgprs: 35
; NumVgprs: 9
; ScratchSize: 0
; MemoryBound: 0
; FloatMode: 240
; IeeeMode: 1
; LDSByteSize: 0 bytes/workgroup (compile time only)
; SGPRBlocks: 4
; VGPRBlocks: 2
; NumSGPRsForWavesPerEU: 35
; NumVGPRsForWavesPerEU: 9
; Occupancy: 10
; WaveLimiterHint : 1
; COMPUTE_PGM_RSRC2:SCRATCH_EN: 0
; COMPUTE_PGM_RSRC2:USER_SGPR: 6
; COMPUTE_PGM_RSRC2:TRAP_HANDLER: 0
; COMPUTE_PGM_RSRC2:TGID_X_EN: 1
; COMPUTE_PGM_RSRC2:TGID_Y_EN: 1
; COMPUTE_PGM_RSRC2:TGID_Z_EN: 0
; COMPUTE_PGM_RSRC2:TIDIG_COMP_CNT: 0
	.section	.text._ZN9rocsolver6v33100L28getf2_npvt_check_singularityI19rocblas_complex_numIfEiiPS3_EEvT0_T2_lS5_S5_lPT_PT1_S5_,"axG",@progbits,_ZN9rocsolver6v33100L28getf2_npvt_check_singularityI19rocblas_complex_numIfEiiPS3_EEvT0_T2_lS5_S5_lPT_PT1_S5_,comdat
	.globl	_ZN9rocsolver6v33100L28getf2_npvt_check_singularityI19rocblas_complex_numIfEiiPS3_EEvT0_T2_lS5_S5_lPT_PT1_S5_ ; -- Begin function _ZN9rocsolver6v33100L28getf2_npvt_check_singularityI19rocblas_complex_numIfEiiPS3_EEvT0_T2_lS5_S5_lPT_PT1_S5_
	.p2align	8
	.type	_ZN9rocsolver6v33100L28getf2_npvt_check_singularityI19rocblas_complex_numIfEiiPS3_EEvT0_T2_lS5_S5_lPT_PT1_S5_,@function
_ZN9rocsolver6v33100L28getf2_npvt_check_singularityI19rocblas_complex_numIfEiiPS3_EEvT0_T2_lS5_S5_lPT_PT1_S5_: ; @_ZN9rocsolver6v33100L28getf2_npvt_check_singularityI19rocblas_complex_numIfEiiPS3_EEvT0_T2_lS5_S5_lPT_PT1_S5_
; %bb.0:
	s_load_dwordx4 s[0:3], s[4:5], 0x20
	s_load_dwordx2 s[8:9], s[4:5], 0x18
	s_load_dword s10, s[4:5], 0x0
	s_load_dwordx4 s[12:15], s[4:5], 0x8
	s_mov_b32 s6, s7
	s_ashr_i32 s7, s7, 31
	s_waitcnt lgkmcnt(0)
	s_mul_hi_u32 s11, s0, s6
	s_mul_i32 s16, s0, s7
	s_add_i32 s11, s11, s16
	s_mul_i32 s1, s1, s6
	s_add_i32 s1, s11, s1
	s_mul_i32 s0, s0, s6
	s_lshl_b64 s[0:1], s[0:1], 3
	s_add_u32 s11, s12, s0
	s_addc_u32 s12, s13, s1
	s_lshl_b64 s[0:1], s[14:15], 3
	s_add_u32 s11, s11, s0
	s_addc_u32 s12, s12, s1
	s_add_i32 s0, s9, s8
	s_mul_i32 s0, s0, s10
	s_ashr_i32 s1, s0, 31
	s_lshl_b64 s[0:1], s[0:1], 3
	s_add_u32 s8, s11, s0
	s_addc_u32 s9, s12, s1
	s_load_dwordx2 s[0:1], s[8:9], 0x0
	s_waitcnt lgkmcnt(0)
	v_cmp_eq_f32_e64 s[8:9], s0, 0
	v_cmp_eq_f32_e64 s[12:13], s1, 0
	s_and_b64 s[8:9], s[8:9], s[12:13]
	s_andn2_b64 vcc, exec, s[8:9]
	s_mov_b64 s[8:9], -1
	s_cbranch_vccz .LBB21_6
; %bb.1:
	v_mov_b32_e32 v0, s1
	v_cmp_ngt_f32_e64 s[8:9], |s0|, |v0|
	s_and_b64 vcc, exec, s[8:9]
	s_cbranch_vccz .LBB21_3
; %bb.2:
	v_mov_b32_e32 v0, s0
	v_div_scale_f32 v1, s[8:9], s1, s1, v0
	v_mov_b32_e32 v2, s1
	v_div_scale_f32 v3, vcc, s0, v2, s0
	v_rcp_f32_e32 v4, v1
	v_fma_f32 v5, -v1, v4, 1.0
	v_fmac_f32_e32 v4, v5, v4
	v_mul_f32_e32 v5, v3, v4
	v_fma_f32 v6, -v1, v5, v3
	v_fmac_f32_e32 v5, v6, v4
	v_fma_f32 v1, -v1, v5, v3
	v_div_fmas_f32 v1, v1, v4, v5
	v_div_fixup_f32 v0, v1, s1, v0
	v_fma_f32 v1, s0, v0, v2
	v_div_scale_f32 v2, s[8:9], v1, v1, 1.0
	v_div_scale_f32 v3, vcc, 1.0, v1, 1.0
	v_rcp_f32_e32 v4, v2
	v_fma_f32 v5, -v2, v4, 1.0
	v_fmac_f32_e32 v4, v5, v4
	v_mul_f32_e32 v5, v3, v4
	v_fma_f32 v6, -v2, v5, v3
	v_fmac_f32_e32 v5, v6, v4
	v_fma_f32 v2, -v2, v5, v3
	v_div_fmas_f32 v2, v2, v4, v5
	v_div_fixup_f32 v1, v2, v1, 1.0
	v_mul_f32_e32 v0, v0, v1
	v_xor_b32_e32 v1, 0x80000000, v1
	s_cbranch_execz .LBB21_4
	s_branch .LBB21_5
.LBB21_3:
                                        ; implicit-def: $vgpr0
.LBB21_4:
	v_mov_b32_e32 v0, s1
	v_div_scale_f32 v1, s[8:9], s0, s0, v0
	v_mov_b32_e32 v2, s0
	v_div_scale_f32 v3, vcc, s1, v2, s1
	v_rcp_f32_e32 v4, v1
	v_fma_f32 v5, -v1, v4, 1.0
	v_fmac_f32_e32 v4, v5, v4
	v_mul_f32_e32 v5, v3, v4
	v_fma_f32 v6, -v1, v5, v3
	v_fmac_f32_e32 v5, v6, v4
	v_fma_f32 v1, -v1, v5, v3
	v_div_fmas_f32 v1, v1, v4, v5
	v_div_fixup_f32 v1, v1, s0, v0
	v_fma_f32 v0, s1, v1, v2
	v_div_scale_f32 v2, s[0:1], v0, v0, 1.0
	v_div_scale_f32 v3, vcc, 1.0, v0, 1.0
	v_rcp_f32_e32 v4, v2
	v_fma_f32 v5, -v2, v4, 1.0
	v_fmac_f32_e32 v4, v5, v4
	v_mul_f32_e32 v5, v3, v4
	v_fma_f32 v6, -v2, v5, v3
	v_fmac_f32_e32 v5, v6, v4
	v_fma_f32 v2, -v2, v5, v3
	v_div_fmas_f32 v2, v2, v4, v5
	v_div_fixup_f32 v0, v2, v0, 1.0
	v_mul_f32_e64 v1, v1, -v0
.LBB21_5:
	s_lshl_b64 s[0:1], s[6:7], 3
	s_add_u32 s0, s2, s0
	s_addc_u32 s1, s3, s1
	v_mov_b32_e32 v2, 0
	s_mov_b64 s[8:9], 0
	global_store_dwordx2 v2, v[0:1], s[0:1]
.LBB21_6:
	s_and_b64 vcc, exec, s[8:9]
	s_cbranch_vccz .LBB21_8
; %bb.7:
	s_load_dwordx2 s[0:1], s[4:5], 0x30
	s_lshl_b64 s[8:9], s[6:7], 3
	s_add_u32 s2, s2, s8
	s_addc_u32 s3, s3, s9
	v_mov_b32_e32 v1, 0
	v_mov_b32_e32 v0, 1.0
	global_store_dwordx2 v1, v[0:1], s[2:3]
	s_lshl_b64 s[2:3], s[6:7], 2
	s_waitcnt lgkmcnt(0)
	s_add_u32 s0, s0, s2
	s_addc_u32 s1, s1, s3
	global_load_dword v0, v1, s[0:1]
	s_waitcnt vmcnt(0)
	v_cmp_ne_u32_e32 vcc, 0, v0
	s_cbranch_vccz .LBB21_9
.LBB21_8:
	s_endpgm
.LBB21_9:
	s_load_dword s2, s[4:5], 0x38
	s_waitcnt lgkmcnt(0)
	s_add_i32 s2, s10, s2
	s_add_i32 s2, s2, 1
	v_mov_b32_e32 v0, s2
	global_store_dword v1, v0, s[0:1]
	s_endpgm
	.section	.rodata,"a",@progbits
	.p2align	6, 0x0
	.amdhsa_kernel _ZN9rocsolver6v33100L28getf2_npvt_check_singularityI19rocblas_complex_numIfEiiPS3_EEvT0_T2_lS5_S5_lPT_PT1_S5_
		.amdhsa_group_segment_fixed_size 0
		.amdhsa_private_segment_fixed_size 0
		.amdhsa_kernarg_size 60
		.amdhsa_user_sgpr_count 6
		.amdhsa_user_sgpr_private_segment_buffer 1
		.amdhsa_user_sgpr_dispatch_ptr 0
		.amdhsa_user_sgpr_queue_ptr 0
		.amdhsa_user_sgpr_kernarg_segment_ptr 1
		.amdhsa_user_sgpr_dispatch_id 0
		.amdhsa_user_sgpr_flat_scratch_init 0
		.amdhsa_user_sgpr_private_segment_size 0
		.amdhsa_uses_dynamic_stack 0
		.amdhsa_system_sgpr_private_segment_wavefront_offset 0
		.amdhsa_system_sgpr_workgroup_id_x 1
		.amdhsa_system_sgpr_workgroup_id_y 1
		.amdhsa_system_sgpr_workgroup_id_z 0
		.amdhsa_system_sgpr_workgroup_info 0
		.amdhsa_system_vgpr_workitem_id 0
		.amdhsa_next_free_vgpr 7
		.amdhsa_next_free_sgpr 17
		.amdhsa_reserve_vcc 1
		.amdhsa_reserve_flat_scratch 0
		.amdhsa_float_round_mode_32 0
		.amdhsa_float_round_mode_16_64 0
		.amdhsa_float_denorm_mode_32 3
		.amdhsa_float_denorm_mode_16_64 3
		.amdhsa_dx10_clamp 1
		.amdhsa_ieee_mode 1
		.amdhsa_fp16_overflow 0
		.amdhsa_exception_fp_ieee_invalid_op 0
		.amdhsa_exception_fp_denorm_src 0
		.amdhsa_exception_fp_ieee_div_zero 0
		.amdhsa_exception_fp_ieee_overflow 0
		.amdhsa_exception_fp_ieee_underflow 0
		.amdhsa_exception_fp_ieee_inexact 0
		.amdhsa_exception_int_div_zero 0
	.end_amdhsa_kernel
	.section	.text._ZN9rocsolver6v33100L28getf2_npvt_check_singularityI19rocblas_complex_numIfEiiPS3_EEvT0_T2_lS5_S5_lPT_PT1_S5_,"axG",@progbits,_ZN9rocsolver6v33100L28getf2_npvt_check_singularityI19rocblas_complex_numIfEiiPS3_EEvT0_T2_lS5_S5_lPT_PT1_S5_,comdat
.Lfunc_end21:
	.size	_ZN9rocsolver6v33100L28getf2_npvt_check_singularityI19rocblas_complex_numIfEiiPS3_EEvT0_T2_lS5_S5_lPT_PT1_S5_, .Lfunc_end21-_ZN9rocsolver6v33100L28getf2_npvt_check_singularityI19rocblas_complex_numIfEiiPS3_EEvT0_T2_lS5_S5_lPT_PT1_S5_
                                        ; -- End function
	.set _ZN9rocsolver6v33100L28getf2_npvt_check_singularityI19rocblas_complex_numIfEiiPS3_EEvT0_T2_lS5_S5_lPT_PT1_S5_.num_vgpr, 7
	.set _ZN9rocsolver6v33100L28getf2_npvt_check_singularityI19rocblas_complex_numIfEiiPS3_EEvT0_T2_lS5_S5_lPT_PT1_S5_.num_agpr, 0
	.set _ZN9rocsolver6v33100L28getf2_npvt_check_singularityI19rocblas_complex_numIfEiiPS3_EEvT0_T2_lS5_S5_lPT_PT1_S5_.numbered_sgpr, 17
	.set _ZN9rocsolver6v33100L28getf2_npvt_check_singularityI19rocblas_complex_numIfEiiPS3_EEvT0_T2_lS5_S5_lPT_PT1_S5_.num_named_barrier, 0
	.set _ZN9rocsolver6v33100L28getf2_npvt_check_singularityI19rocblas_complex_numIfEiiPS3_EEvT0_T2_lS5_S5_lPT_PT1_S5_.private_seg_size, 0
	.set _ZN9rocsolver6v33100L28getf2_npvt_check_singularityI19rocblas_complex_numIfEiiPS3_EEvT0_T2_lS5_S5_lPT_PT1_S5_.uses_vcc, 1
	.set _ZN9rocsolver6v33100L28getf2_npvt_check_singularityI19rocblas_complex_numIfEiiPS3_EEvT0_T2_lS5_S5_lPT_PT1_S5_.uses_flat_scratch, 0
	.set _ZN9rocsolver6v33100L28getf2_npvt_check_singularityI19rocblas_complex_numIfEiiPS3_EEvT0_T2_lS5_S5_lPT_PT1_S5_.has_dyn_sized_stack, 0
	.set _ZN9rocsolver6v33100L28getf2_npvt_check_singularityI19rocblas_complex_numIfEiiPS3_EEvT0_T2_lS5_S5_lPT_PT1_S5_.has_recursion, 0
	.set _ZN9rocsolver6v33100L28getf2_npvt_check_singularityI19rocblas_complex_numIfEiiPS3_EEvT0_T2_lS5_S5_lPT_PT1_S5_.has_indirect_call, 0
	.section	.AMDGPU.csdata,"",@progbits
; Kernel info:
; codeLenInByte = 676
; TotalNumSgprs: 21
; NumVgprs: 7
; ScratchSize: 0
; MemoryBound: 0
; FloatMode: 240
; IeeeMode: 1
; LDSByteSize: 0 bytes/workgroup (compile time only)
; SGPRBlocks: 2
; VGPRBlocks: 1
; NumSGPRsForWavesPerEU: 21
; NumVGPRsForWavesPerEU: 7
; Occupancy: 10
; WaveLimiterHint : 0
; COMPUTE_PGM_RSRC2:SCRATCH_EN: 0
; COMPUTE_PGM_RSRC2:USER_SGPR: 6
; COMPUTE_PGM_RSRC2:TRAP_HANDLER: 0
; COMPUTE_PGM_RSRC2:TGID_X_EN: 1
; COMPUTE_PGM_RSRC2:TGID_Y_EN: 1
; COMPUTE_PGM_RSRC2:TGID_Z_EN: 0
; COMPUTE_PGM_RSRC2:TIDIG_COMP_CNT: 0
	.section	.text._ZN9rocsolver6v33100L19getrf_row_permutateI19rocblas_complex_numIfEiPS3_EEvT0_S5_S5_T1_lS5_S5_lPS5_l,"axG",@progbits,_ZN9rocsolver6v33100L19getrf_row_permutateI19rocblas_complex_numIfEiPS3_EEvT0_S5_S5_T1_lS5_S5_lPS5_l,comdat
	.globl	_ZN9rocsolver6v33100L19getrf_row_permutateI19rocblas_complex_numIfEiPS3_EEvT0_S5_S5_T1_lS5_S5_lPS5_l ; -- Begin function _ZN9rocsolver6v33100L19getrf_row_permutateI19rocblas_complex_numIfEiPS3_EEvT0_S5_S5_T1_lS5_S5_lPS5_l
	.p2align	8
	.type	_ZN9rocsolver6v33100L19getrf_row_permutateI19rocblas_complex_numIfEiPS3_EEvT0_S5_S5_T1_lS5_S5_lPS5_l,@function
_ZN9rocsolver6v33100L19getrf_row_permutateI19rocblas_complex_numIfEiPS3_EEvT0_S5_S5_T1_lS5_S5_lPS5_l: ; @_ZN9rocsolver6v33100L19getrf_row_permutateI19rocblas_complex_numIfEiPS3_EEvT0_S5_S5_T1_lS5_S5_lPS5_l
; %bb.0:
	s_load_dword s2, s[4:5], 0x4c
	s_load_dwordx4 s[12:15], s[4:5], 0x0
	s_add_u32 s0, s4, 64
	s_addc_u32 s1, s5, 0
	s_waitcnt lgkmcnt(0)
	s_lshr_b32 s2, s2, 16
	s_mul_i32 s7, s7, s2
	v_add_u32_e32 v2, s7, v1
	v_mov_b32_e32 v3, s14
	v_cmp_le_i32_e32 vcc, s13, v2
	v_cndmask_b32_e32 v3, 0, v3, vcc
	v_add_u32_e32 v2, v3, v2
	v_cmp_gt_i32_e32 vcc, s12, v2
	s_and_saveexec_b64 s[2:3], vcc
	s_cbranch_execz .LBB22_2
; %bb.1:
	s_load_dword s9, s[0:1], 0xc
	s_load_dwordx4 s[12:15], s[4:5], 0x28
	s_load_dwordx4 s[16:19], s[4:5], 0x10
	s_load_dwordx2 s[2:3], s[4:5], 0x20
	s_load_dwordx2 s[6:7], s[4:5], 0x38
	s_ashr_i32 s5, s8, 31
	s_waitcnt lgkmcnt(0)
	s_mul_hi_u32 s0, s12, s8
	s_mul_i32 s1, s12, s5
	s_add_i32 s0, s0, s1
	s_mul_i32 s1, s13, s8
	s_add_i32 s1, s0, s1
	s_mul_i32 s0, s12, s8
	s_and_b32 s4, s9, 0xffff
	s_lshl_b64 s[0:1], s[0:1], 3
	s_add_u32 s9, s16, s0
	s_addc_u32 s10, s17, s1
	s_lshl_b64 s[0:1], s[18:19], 3
	s_add_u32 s9, s9, s0
	s_addc_u32 s10, s10, s1
	s_mul_hi_u32 s0, s6, s8
	s_mul_i32 s1, s6, s5
	s_add_i32 s0, s0, s1
	s_mul_i32 s1, s7, s8
	s_add_i32 s1, s0, s1
	s_mul_i32 s0, s6, s8
	s_lshl_b64 s[0:1], s[0:1], 2
	s_add_u32 s0, s14, s0
	s_addc_u32 s1, s15, s1
	v_lshlrev_b32_e32 v3, 2, v0
	global_load_dword v3, v3, s[0:1]
	v_mov_b32_e32 v6, s1
	v_mul_lo_u32 v2, v2, s3
	v_mov_b32_e32 v7, s10
	v_mov_b32_e32 v8, s10
	v_lshlrev_b32_e32 v11, 3, v0
	s_waitcnt vmcnt(0)
	v_ashrrev_i32_e32 v4, 31, v3
	v_lshlrev_b64 v[4:5], 2, v[3:4]
	v_add_co_u32_e32 v4, vcc, s0, v4
	v_addc_co_u32_e32 v5, vcc, v6, v5, vcc
	global_load_dword v5, v[4:5], off
	v_mad_u64_u32 v[3:4], s[0:1], v3, s2, v[2:3]
	v_ashrrev_i32_e32 v4, 31, v3
	v_lshlrev_b64 v[3:4], 3, v[3:4]
	s_waitcnt vmcnt(0)
	v_mad_u64_u32 v[5:6], s[0:1], v5, s2, v[2:3]
	v_add_co_u32_e32 v3, vcc, s9, v3
	v_ashrrev_i32_e32 v6, 31, v5
	v_lshlrev_b64 v[5:6], 3, v[5:6]
	v_addc_co_u32_e32 v4, vcc, v7, v4, vcc
	v_add_co_u32_e32 v5, vcc, s9, v5
	v_addc_co_u32_e32 v6, vcc, v8, v6, vcc
	global_load_dwordx2 v[7:8], v[3:4], off
	global_load_dwordx2 v[9:10], v[5:6], off
	v_mad_u64_u32 v[5:6], s[0:1], s2, v0, v[2:3]
	v_mul_u32_u24_e32 v0, s4, v1
	v_lshlrev_b32_e32 v0, 3, v0
	v_add3_u32 v2, 0, v11, v0
	v_ashrrev_i32_e32 v6, 31, v5
	v_lshlrev_b64 v[0:1], 3, v[5:6]
	v_mov_b32_e32 v11, s10
	v_add_co_u32_e32 v0, vcc, s9, v0
	v_addc_co_u32_e32 v1, vcc, v11, v1, vcc
	s_waitcnt vmcnt(1)
	ds_write_b64 v2, v[7:8]
	s_waitcnt vmcnt(0)
	global_store_dwordx2 v[3:4], v[9:10], off
	s_waitcnt vmcnt(0) lgkmcnt(0)
	s_barrier
	ds_read_b64 v[2:3], v2
	s_waitcnt lgkmcnt(0)
	global_store_dwordx2 v[0:1], v[2:3], off
.LBB22_2:
	s_endpgm
	.section	.rodata,"a",@progbits
	.p2align	6, 0x0
	.amdhsa_kernel _ZN9rocsolver6v33100L19getrf_row_permutateI19rocblas_complex_numIfEiPS3_EEvT0_S5_S5_T1_lS5_S5_lPS5_l
		.amdhsa_group_segment_fixed_size 0
		.amdhsa_private_segment_fixed_size 0
		.amdhsa_kernarg_size 320
		.amdhsa_user_sgpr_count 6
		.amdhsa_user_sgpr_private_segment_buffer 1
		.amdhsa_user_sgpr_dispatch_ptr 0
		.amdhsa_user_sgpr_queue_ptr 0
		.amdhsa_user_sgpr_kernarg_segment_ptr 1
		.amdhsa_user_sgpr_dispatch_id 0
		.amdhsa_user_sgpr_flat_scratch_init 0
		.amdhsa_user_sgpr_private_segment_size 0
		.amdhsa_uses_dynamic_stack 0
		.amdhsa_system_sgpr_private_segment_wavefront_offset 0
		.amdhsa_system_sgpr_workgroup_id_x 1
		.amdhsa_system_sgpr_workgroup_id_y 1
		.amdhsa_system_sgpr_workgroup_id_z 1
		.amdhsa_system_sgpr_workgroup_info 0
		.amdhsa_system_vgpr_workitem_id 1
		.amdhsa_next_free_vgpr 12
		.amdhsa_next_free_sgpr 20
		.amdhsa_reserve_vcc 1
		.amdhsa_reserve_flat_scratch 0
		.amdhsa_float_round_mode_32 0
		.amdhsa_float_round_mode_16_64 0
		.amdhsa_float_denorm_mode_32 3
		.amdhsa_float_denorm_mode_16_64 3
		.amdhsa_dx10_clamp 1
		.amdhsa_ieee_mode 1
		.amdhsa_fp16_overflow 0
		.amdhsa_exception_fp_ieee_invalid_op 0
		.amdhsa_exception_fp_denorm_src 0
		.amdhsa_exception_fp_ieee_div_zero 0
		.amdhsa_exception_fp_ieee_overflow 0
		.amdhsa_exception_fp_ieee_underflow 0
		.amdhsa_exception_fp_ieee_inexact 0
		.amdhsa_exception_int_div_zero 0
	.end_amdhsa_kernel
	.section	.text._ZN9rocsolver6v33100L19getrf_row_permutateI19rocblas_complex_numIfEiPS3_EEvT0_S5_S5_T1_lS5_S5_lPS5_l,"axG",@progbits,_ZN9rocsolver6v33100L19getrf_row_permutateI19rocblas_complex_numIfEiPS3_EEvT0_S5_S5_T1_lS5_S5_lPS5_l,comdat
.Lfunc_end22:
	.size	_ZN9rocsolver6v33100L19getrf_row_permutateI19rocblas_complex_numIfEiPS3_EEvT0_S5_S5_T1_lS5_S5_lPS5_l, .Lfunc_end22-_ZN9rocsolver6v33100L19getrf_row_permutateI19rocblas_complex_numIfEiPS3_EEvT0_S5_S5_T1_lS5_S5_lPS5_l
                                        ; -- End function
	.set _ZN9rocsolver6v33100L19getrf_row_permutateI19rocblas_complex_numIfEiPS3_EEvT0_S5_S5_T1_lS5_S5_lPS5_l.num_vgpr, 12
	.set _ZN9rocsolver6v33100L19getrf_row_permutateI19rocblas_complex_numIfEiPS3_EEvT0_S5_S5_T1_lS5_S5_lPS5_l.num_agpr, 0
	.set _ZN9rocsolver6v33100L19getrf_row_permutateI19rocblas_complex_numIfEiPS3_EEvT0_S5_S5_T1_lS5_S5_lPS5_l.numbered_sgpr, 20
	.set _ZN9rocsolver6v33100L19getrf_row_permutateI19rocblas_complex_numIfEiPS3_EEvT0_S5_S5_T1_lS5_S5_lPS5_l.num_named_barrier, 0
	.set _ZN9rocsolver6v33100L19getrf_row_permutateI19rocblas_complex_numIfEiPS3_EEvT0_S5_S5_T1_lS5_S5_lPS5_l.private_seg_size, 0
	.set _ZN9rocsolver6v33100L19getrf_row_permutateI19rocblas_complex_numIfEiPS3_EEvT0_S5_S5_T1_lS5_S5_lPS5_l.uses_vcc, 1
	.set _ZN9rocsolver6v33100L19getrf_row_permutateI19rocblas_complex_numIfEiPS3_EEvT0_S5_S5_T1_lS5_S5_lPS5_l.uses_flat_scratch, 0
	.set _ZN9rocsolver6v33100L19getrf_row_permutateI19rocblas_complex_numIfEiPS3_EEvT0_S5_S5_T1_lS5_S5_lPS5_l.has_dyn_sized_stack, 0
	.set _ZN9rocsolver6v33100L19getrf_row_permutateI19rocblas_complex_numIfEiPS3_EEvT0_S5_S5_T1_lS5_S5_lPS5_l.has_recursion, 0
	.set _ZN9rocsolver6v33100L19getrf_row_permutateI19rocblas_complex_numIfEiPS3_EEvT0_S5_S5_T1_lS5_S5_lPS5_l.has_indirect_call, 0
	.section	.AMDGPU.csdata,"",@progbits
; Kernel info:
; codeLenInByte = 456
; TotalNumSgprs: 24
; NumVgprs: 12
; ScratchSize: 0
; MemoryBound: 0
; FloatMode: 240
; IeeeMode: 1
; LDSByteSize: 0 bytes/workgroup (compile time only)
; SGPRBlocks: 2
; VGPRBlocks: 2
; NumSGPRsForWavesPerEU: 24
; NumVGPRsForWavesPerEU: 12
; Occupancy: 10
; WaveLimiterHint : 1
; COMPUTE_PGM_RSRC2:SCRATCH_EN: 0
; COMPUTE_PGM_RSRC2:USER_SGPR: 6
; COMPUTE_PGM_RSRC2:TRAP_HANDLER: 0
; COMPUTE_PGM_RSRC2:TGID_X_EN: 1
; COMPUTE_PGM_RSRC2:TGID_Y_EN: 1
; COMPUTE_PGM_RSRC2:TGID_Z_EN: 1
; COMPUTE_PGM_RSRC2:TIDIG_COMP_CNT: 1
	.section	.text._ZN9rocsolver6v33100L8copy_matI19rocblas_complex_numIfEPS3_S4_NS0_7no_maskEEEviiT0_iilT1_iilT2_13rocblas_fill_17rocblas_diagonal_,"axG",@progbits,_ZN9rocsolver6v33100L8copy_matI19rocblas_complex_numIfEPS3_S4_NS0_7no_maskEEEviiT0_iilT1_iilT2_13rocblas_fill_17rocblas_diagonal_,comdat
	.globl	_ZN9rocsolver6v33100L8copy_matI19rocblas_complex_numIfEPS3_S4_NS0_7no_maskEEEviiT0_iilT1_iilT2_13rocblas_fill_17rocblas_diagonal_ ; -- Begin function _ZN9rocsolver6v33100L8copy_matI19rocblas_complex_numIfEPS3_S4_NS0_7no_maskEEEviiT0_iilT1_iilT2_13rocblas_fill_17rocblas_diagonal_
	.p2align	8
	.type	_ZN9rocsolver6v33100L8copy_matI19rocblas_complex_numIfEPS3_S4_NS0_7no_maskEEEviiT0_iilT1_iilT2_13rocblas_fill_17rocblas_diagonal_,@function
_ZN9rocsolver6v33100L8copy_matI19rocblas_complex_numIfEPS3_S4_NS0_7no_maskEEEviiT0_iilT1_iilT2_13rocblas_fill_17rocblas_diagonal_: ; @_ZN9rocsolver6v33100L8copy_matI19rocblas_complex_numIfEPS3_S4_NS0_7no_maskEEEviiT0_iilT1_iilT2_13rocblas_fill_17rocblas_diagonal_
; %bb.0:
	s_load_dword s2, s[4:5], 0x54
	s_load_dwordx2 s[0:1], s[4:5], 0x0
	s_waitcnt lgkmcnt(0)
	s_lshr_b32 s3, s2, 16
	s_and_b32 s2, s2, 0xffff
	s_mul_i32 s7, s7, s3
	s_mul_i32 s6, s6, s2
	v_add_u32_e32 v1, s7, v1
	v_add_u32_e32 v0, s6, v0
	v_cmp_gt_u32_e32 vcc, s0, v0
	v_cmp_gt_u32_e64 s[0:1], s1, v1
	s_and_b64 s[0:1], s[0:1], vcc
	s_and_saveexec_b64 s[2:3], s[0:1]
	s_cbranch_execz .LBB23_14
; %bb.1:
	s_load_dwordx2 s[2:3], s[4:5], 0x3c
	s_waitcnt lgkmcnt(0)
	s_cmpk_lt_i32 s2, 0x7a
	s_cbranch_scc1 .LBB23_4
; %bb.2:
	s_cmpk_gt_i32 s2, 0x7a
	s_cbranch_scc0 .LBB23_5
; %bb.3:
	s_cmpk_lg_i32 s2, 0x7b
	s_mov_b64 s[6:7], -1
	s_cselect_b64 s[10:11], -1, 0
	s_cbranch_execz .LBB23_6
	s_branch .LBB23_7
.LBB23_4:
	s_mov_b64 s[10:11], 0
	s_mov_b64 s[6:7], 0
	s_cbranch_execnz .LBB23_8
	s_branch .LBB23_10
.LBB23_5:
	s_mov_b64 s[6:7], 0
	s_mov_b64 s[10:11], 0
.LBB23_6:
	v_cmp_gt_u32_e32 vcc, v0, v1
	v_cmp_le_u32_e64 s[0:1], v0, v1
	s_andn2_b64 s[6:7], s[6:7], exec
	s_and_b64 s[12:13], vcc, exec
	s_andn2_b64 s[10:11], s[10:11], exec
	s_and_b64 s[0:1], s[0:1], exec
	s_or_b64 s[6:7], s[6:7], s[12:13]
	s_or_b64 s[10:11], s[10:11], s[0:1]
.LBB23_7:
	s_branch .LBB23_10
.LBB23_8:
	s_cmpk_eq_i32 s2, 0x79
	s_mov_b64 s[10:11], -1
	s_cbranch_scc0 .LBB23_10
; %bb.9:
	v_cmp_gt_u32_e32 vcc, v1, v0
	v_cmp_le_u32_e64 s[0:1], v1, v0
	s_andn2_b64 s[6:7], s[6:7], exec
	s_and_b64 s[10:11], vcc, exec
	s_or_b64 s[6:7], s[6:7], s[10:11]
	s_orn2_b64 s[10:11], s[0:1], exec
.LBB23_10:
	s_and_saveexec_b64 s[0:1], s[10:11]
; %bb.11:
	s_cmpk_eq_i32 s3, 0x83
	s_cselect_b64 s[2:3], -1, 0
	v_cmp_eq_u32_e32 vcc, v0, v1
	s_and_b64 s[2:3], s[2:3], vcc
	s_andn2_b64 s[6:7], s[6:7], exec
	s_and_b64 s[2:3], s[2:3], exec
	s_or_b64 s[6:7], s[6:7], s[2:3]
; %bb.12:
	s_or_b64 exec, exec, s[0:1]
	s_and_b64 exec, exec, s[6:7]
	s_cbranch_execz .LBB23_14
; %bb.13:
	s_load_dwordx8 s[12:19], s[4:5], 0x8
	s_waitcnt lgkmcnt(0)
	s_mul_i32 s3, s17, s8
	s_mul_hi_u32 s6, s16, s8
	s_mul_i32 s2, s16, s8
	s_add_i32 s3, s6, s3
	s_ashr_i32 s1, s14, 31
	s_lshl_b64 s[2:3], s[2:3], 3
	s_add_u32 s6, s12, s2
	s_addc_u32 s7, s13, s3
	v_mad_u64_u32 v[2:3], s[2:3], v1, s15, v[0:1]
	s_mov_b32 s0, s14
	s_lshl_b64 s[0:1], s[0:1], 3
	v_mov_b32_e32 v3, 0
	s_add_u32 s0, s6, s0
	v_lshlrev_b64 v[4:5], 3, v[2:3]
	s_addc_u32 s1, s7, s1
	v_mov_b32_e32 v2, s1
	v_add_co_u32_e32 v4, vcc, s0, v4
	v_addc_co_u32_e32 v5, vcc, v2, v5, vcc
	global_load_dwordx2 v[4:5], v[4:5], off
	s_load_dwordx4 s[0:3], s[4:5], 0x28
	s_waitcnt lgkmcnt(0)
	s_ashr_i32 s5, s0, 31
	s_mov_b32 s4, s0
	s_mul_i32 s0, s3, s8
	s_mul_hi_u32 s3, s2, s8
	s_add_i32 s3, s3, s0
	s_mul_i32 s2, s2, s8
	v_mad_u64_u32 v[0:1], s[0:1], v1, s1, v[0:1]
	s_lshl_b64 s[2:3], s[2:3], 3
	s_add_u32 s6, s18, s2
	s_addc_u32 s7, s19, s3
	s_lshl_b64 s[2:3], s[4:5], 3
	v_mov_b32_e32 v1, v3
	s_add_u32 s0, s6, s2
	v_lshlrev_b64 v[0:1], 3, v[0:1]
	s_addc_u32 s1, s7, s3
	v_mov_b32_e32 v2, s1
	v_add_co_u32_e32 v0, vcc, s0, v0
	v_addc_co_u32_e32 v1, vcc, v2, v1, vcc
	s_waitcnt vmcnt(0)
	global_store_dwordx2 v[0:1], v[4:5], off
.LBB23_14:
	s_endpgm
	.section	.rodata,"a",@progbits
	.p2align	6, 0x0
	.amdhsa_kernel _ZN9rocsolver6v33100L8copy_matI19rocblas_complex_numIfEPS3_S4_NS0_7no_maskEEEviiT0_iilT1_iilT2_13rocblas_fill_17rocblas_diagonal_
		.amdhsa_group_segment_fixed_size 0
		.amdhsa_private_segment_fixed_size 0
		.amdhsa_kernarg_size 328
		.amdhsa_user_sgpr_count 6
		.amdhsa_user_sgpr_private_segment_buffer 1
		.amdhsa_user_sgpr_dispatch_ptr 0
		.amdhsa_user_sgpr_queue_ptr 0
		.amdhsa_user_sgpr_kernarg_segment_ptr 1
		.amdhsa_user_sgpr_dispatch_id 0
		.amdhsa_user_sgpr_flat_scratch_init 0
		.amdhsa_user_sgpr_private_segment_size 0
		.amdhsa_uses_dynamic_stack 0
		.amdhsa_system_sgpr_private_segment_wavefront_offset 0
		.amdhsa_system_sgpr_workgroup_id_x 1
		.amdhsa_system_sgpr_workgroup_id_y 1
		.amdhsa_system_sgpr_workgroup_id_z 1
		.amdhsa_system_sgpr_workgroup_info 0
		.amdhsa_system_vgpr_workitem_id 1
		.amdhsa_next_free_vgpr 6
		.amdhsa_next_free_sgpr 20
		.amdhsa_reserve_vcc 1
		.amdhsa_reserve_flat_scratch 0
		.amdhsa_float_round_mode_32 0
		.amdhsa_float_round_mode_16_64 0
		.amdhsa_float_denorm_mode_32 3
		.amdhsa_float_denorm_mode_16_64 3
		.amdhsa_dx10_clamp 1
		.amdhsa_ieee_mode 1
		.amdhsa_fp16_overflow 0
		.amdhsa_exception_fp_ieee_invalid_op 0
		.amdhsa_exception_fp_denorm_src 0
		.amdhsa_exception_fp_ieee_div_zero 0
		.amdhsa_exception_fp_ieee_overflow 0
		.amdhsa_exception_fp_ieee_underflow 0
		.amdhsa_exception_fp_ieee_inexact 0
		.amdhsa_exception_int_div_zero 0
	.end_amdhsa_kernel
	.section	.text._ZN9rocsolver6v33100L8copy_matI19rocblas_complex_numIfEPS3_S4_NS0_7no_maskEEEviiT0_iilT1_iilT2_13rocblas_fill_17rocblas_diagonal_,"axG",@progbits,_ZN9rocsolver6v33100L8copy_matI19rocblas_complex_numIfEPS3_S4_NS0_7no_maskEEEviiT0_iilT1_iilT2_13rocblas_fill_17rocblas_diagonal_,comdat
.Lfunc_end23:
	.size	_ZN9rocsolver6v33100L8copy_matI19rocblas_complex_numIfEPS3_S4_NS0_7no_maskEEEviiT0_iilT1_iilT2_13rocblas_fill_17rocblas_diagonal_, .Lfunc_end23-_ZN9rocsolver6v33100L8copy_matI19rocblas_complex_numIfEPS3_S4_NS0_7no_maskEEEviiT0_iilT1_iilT2_13rocblas_fill_17rocblas_diagonal_
                                        ; -- End function
	.set _ZN9rocsolver6v33100L8copy_matI19rocblas_complex_numIfEPS3_S4_NS0_7no_maskEEEviiT0_iilT1_iilT2_13rocblas_fill_17rocblas_diagonal_.num_vgpr, 6
	.set _ZN9rocsolver6v33100L8copy_matI19rocblas_complex_numIfEPS3_S4_NS0_7no_maskEEEviiT0_iilT1_iilT2_13rocblas_fill_17rocblas_diagonal_.num_agpr, 0
	.set _ZN9rocsolver6v33100L8copy_matI19rocblas_complex_numIfEPS3_S4_NS0_7no_maskEEEviiT0_iilT1_iilT2_13rocblas_fill_17rocblas_diagonal_.numbered_sgpr, 20
	.set _ZN9rocsolver6v33100L8copy_matI19rocblas_complex_numIfEPS3_S4_NS0_7no_maskEEEviiT0_iilT1_iilT2_13rocblas_fill_17rocblas_diagonal_.num_named_barrier, 0
	.set _ZN9rocsolver6v33100L8copy_matI19rocblas_complex_numIfEPS3_S4_NS0_7no_maskEEEviiT0_iilT1_iilT2_13rocblas_fill_17rocblas_diagonal_.private_seg_size, 0
	.set _ZN9rocsolver6v33100L8copy_matI19rocblas_complex_numIfEPS3_S4_NS0_7no_maskEEEviiT0_iilT1_iilT2_13rocblas_fill_17rocblas_diagonal_.uses_vcc, 1
	.set _ZN9rocsolver6v33100L8copy_matI19rocblas_complex_numIfEPS3_S4_NS0_7no_maskEEEviiT0_iilT1_iilT2_13rocblas_fill_17rocblas_diagonal_.uses_flat_scratch, 0
	.set _ZN9rocsolver6v33100L8copy_matI19rocblas_complex_numIfEPS3_S4_NS0_7no_maskEEEviiT0_iilT1_iilT2_13rocblas_fill_17rocblas_diagonal_.has_dyn_sized_stack, 0
	.set _ZN9rocsolver6v33100L8copy_matI19rocblas_complex_numIfEPS3_S4_NS0_7no_maskEEEviiT0_iilT1_iilT2_13rocblas_fill_17rocblas_diagonal_.has_recursion, 0
	.set _ZN9rocsolver6v33100L8copy_matI19rocblas_complex_numIfEPS3_S4_NS0_7no_maskEEEviiT0_iilT1_iilT2_13rocblas_fill_17rocblas_diagonal_.has_indirect_call, 0
	.section	.AMDGPU.csdata,"",@progbits
; Kernel info:
; codeLenInByte = 476
; TotalNumSgprs: 24
; NumVgprs: 6
; ScratchSize: 0
; MemoryBound: 0
; FloatMode: 240
; IeeeMode: 1
; LDSByteSize: 0 bytes/workgroup (compile time only)
; SGPRBlocks: 2
; VGPRBlocks: 1
; NumSGPRsForWavesPerEU: 24
; NumVGPRsForWavesPerEU: 6
; Occupancy: 10
; WaveLimiterHint : 0
; COMPUTE_PGM_RSRC2:SCRATCH_EN: 0
; COMPUTE_PGM_RSRC2:USER_SGPR: 6
; COMPUTE_PGM_RSRC2:TRAP_HANDLER: 0
; COMPUTE_PGM_RSRC2:TGID_X_EN: 1
; COMPUTE_PGM_RSRC2:TGID_Y_EN: 1
; COMPUTE_PGM_RSRC2:TGID_Z_EN: 1
; COMPUTE_PGM_RSRC2:TIDIG_COMP_CNT: 1
	.section	.text._ZN9rocsolver6v33100L12laswp_kernelI19rocblas_complex_numIfEiPS3_EEvT0_T1_lS5_S5_lS5_S5_PKS5_lS5_l,"axG",@progbits,_ZN9rocsolver6v33100L12laswp_kernelI19rocblas_complex_numIfEiPS3_EEvT0_T1_lS5_S5_lS5_S5_PKS5_lS5_l,comdat
	.globl	_ZN9rocsolver6v33100L12laswp_kernelI19rocblas_complex_numIfEiPS3_EEvT0_T1_lS5_S5_lS5_S5_PKS5_lS5_l ; -- Begin function _ZN9rocsolver6v33100L12laswp_kernelI19rocblas_complex_numIfEiPS3_EEvT0_T1_lS5_S5_lS5_S5_PKS5_lS5_l
	.p2align	8
	.type	_ZN9rocsolver6v33100L12laswp_kernelI19rocblas_complex_numIfEiPS3_EEvT0_T1_lS5_S5_lS5_S5_PKS5_lS5_l,@function
_ZN9rocsolver6v33100L12laswp_kernelI19rocblas_complex_numIfEiPS3_EEvT0_T1_lS5_S5_lS5_S5_PKS5_lS5_l: ; @_ZN9rocsolver6v33100L12laswp_kernelI19rocblas_complex_numIfEiPS3_EEvT0_T1_lS5_S5_lS5_S5_PKS5_lS5_l
; %bb.0:
	s_load_dword s0, s[4:5], 0x5c
	s_load_dword s1, s[4:5], 0x0
	s_waitcnt lgkmcnt(0)
	s_and_b32 s0, s0, 0xffff
	s_mul_i32 s6, s6, s0
	v_add_u32_e32 v0, s6, v0
	v_cmp_gt_i32_e32 vcc, s1, v0
	s_and_saveexec_b64 s[0:1], vcc
	s_cbranch_execz .LBB24_10
; %bb.1:
	s_load_dword s17, s[4:5], 0x40
	s_load_dwordx2 s[0:1], s[4:5], 0x28
	s_waitcnt lgkmcnt(0)
	s_cmp_gt_i32 s17, -1
	s_cbranch_scc0 .LBB24_3
; %bb.2:
	s_add_i32 s6, s1, 1
	s_mov_b32 s16, 1
	s_mov_b32 s2, s0
	s_cbranch_execz .LBB24_4
	s_branch .LBB24_5
.LBB24_3:
                                        ; implicit-def: $sgpr6
	s_mov_b32 s16, 1
	s_mov_b32 s2, s0
.LBB24_4:
	s_mov_b32 s16, -1
	s_add_i32 s6, s0, -1
	s_sub_i32 s17, 0, s17
	s_mov_b32 s2, s1
.LBB24_5:
	s_cmp_eq_u32 s2, s6
	s_cbranch_scc1 .LBB24_10
; %bb.6:
	s_load_dwordx2 s[18:19], s[4:5], 0x48
	s_load_dwordx4 s[20:23], s[4:5], 0x30
	s_load_dwordx8 s[8:15], s[4:5], 0x8
	s_ashr_i32 s1, s7, 31
	v_mov_b32_e32 v3, 0
	s_waitcnt lgkmcnt(0)
	s_mul_hi_u32 s3, s18, s7
	s_mul_i32 s4, s18, s1
	s_add_i32 s3, s3, s4
	s_mul_i32 s4, s19, s7
	s_add_i32 s5, s3, s4
	s_mul_i32 s4, s18, s7
	s_lshl_b64 s[4:5], s[4:5], 2
	s_add_u32 s3, s20, s4
	s_addc_u32 s18, s21, s5
	s_lshl_b64 s[4:5], s[22:23], 2
	s_add_u32 s3, s3, s4
	s_addc_u32 s4, s18, s5
	s_mul_hi_u32 s5, s14, s7
	s_mul_i32 s1, s14, s1
	s_add_i32 s1, s5, s1
	s_mul_i32 s5, s15, s7
	s_add_i32 s15, s1, s5
	s_mul_i32 s14, s14, s7
	s_lshl_b64 s[14:15], s[14:15], 3
	s_add_u32 s1, s8, s14
	s_addc_u32 s7, s9, s15
	s_lshl_b64 s[8:9], s[10:11], 3
	v_mul_lo_u32 v2, v0, s13
	s_add_u32 s5, s1, s8
	s_addc_u32 s7, s7, s9
	s_add_i32 s1, s2, -1
	s_mul_i32 s1, s12, s1
	v_add_u32_e32 v0, s1, v2
	s_sub_i32 s1, s2, s0
	s_mul_i32 s1, s17, s1
	s_mul_i32 s8, s16, s12
	s_add_i32 s0, s0, s1
	s_mul_i32 s9, s17, s16
	s_branch .LBB24_8
.LBB24_7:                               ;   in Loop: Header=BB24_8 Depth=1
	s_add_i32 s2, s2, s16
	s_add_i32 s0, s0, s9
	s_cmp_lg_u32 s6, s2
	v_add_u32_e32 v0, s8, v0
	s_cbranch_scc0 .LBB24_10
.LBB24_8:                               ; =>This Inner Loop Header: Depth=1
	s_ashr_i32 s1, s0, 31
	s_lshl_b64 s[10:11], s[0:1], 2
	s_add_u32 s10, s3, s10
	s_addc_u32 s11, s4, s11
	global_load_dword v4, v3, s[10:11] offset:-4
	s_waitcnt vmcnt(0)
	v_cmp_eq_u32_e32 vcc, s2, v4
	s_cbranch_vccnz .LBB24_7
; %bb.9:                                ;   in Loop: Header=BB24_8 Depth=1
	v_add_u32_e32 v4, -1, v4
	v_ashrrev_i32_e32 v1, 31, v0
	v_mul_lo_u32 v7, v4, s12
	v_lshlrev_b64 v[5:6], 3, v[0:1]
	v_mov_b32_e32 v1, s7
	v_add_co_u32_e32 v4, vcc, s5, v5
	v_addc_co_u32_e32 v5, vcc, v1, v6, vcc
	v_add_u32_e32 v6, v7, v2
	v_ashrrev_i32_e32 v7, 31, v6
	v_lshlrev_b64 v[6:7], 3, v[6:7]
	v_add_co_u32_e32 v6, vcc, s5, v6
	v_addc_co_u32_e32 v7, vcc, v1, v7, vcc
	global_load_dwordx2 v[8:9], v[6:7], off
	global_load_dwordx2 v[10:11], v[4:5], off
	s_waitcnt vmcnt(1)
	global_store_dwordx2 v[4:5], v[8:9], off
	s_waitcnt vmcnt(1)
	global_store_dwordx2 v[6:7], v[10:11], off
	s_branch .LBB24_7
.LBB24_10:
	s_endpgm
	.section	.rodata,"a",@progbits
	.p2align	6, 0x0
	.amdhsa_kernel _ZN9rocsolver6v33100L12laswp_kernelI19rocblas_complex_numIfEiPS3_EEvT0_T1_lS5_S5_lS5_S5_PKS5_lS5_l
		.amdhsa_group_segment_fixed_size 0
		.amdhsa_private_segment_fixed_size 0
		.amdhsa_kernarg_size 336
		.amdhsa_user_sgpr_count 6
		.amdhsa_user_sgpr_private_segment_buffer 1
		.amdhsa_user_sgpr_dispatch_ptr 0
		.amdhsa_user_sgpr_queue_ptr 0
		.amdhsa_user_sgpr_kernarg_segment_ptr 1
		.amdhsa_user_sgpr_dispatch_id 0
		.amdhsa_user_sgpr_flat_scratch_init 0
		.amdhsa_user_sgpr_private_segment_size 0
		.amdhsa_uses_dynamic_stack 0
		.amdhsa_system_sgpr_private_segment_wavefront_offset 0
		.amdhsa_system_sgpr_workgroup_id_x 1
		.amdhsa_system_sgpr_workgroup_id_y 1
		.amdhsa_system_sgpr_workgroup_id_z 0
		.amdhsa_system_sgpr_workgroup_info 0
		.amdhsa_system_vgpr_workitem_id 0
		.amdhsa_next_free_vgpr 12
		.amdhsa_next_free_sgpr 24
		.amdhsa_reserve_vcc 1
		.amdhsa_reserve_flat_scratch 0
		.amdhsa_float_round_mode_32 0
		.amdhsa_float_round_mode_16_64 0
		.amdhsa_float_denorm_mode_32 3
		.amdhsa_float_denorm_mode_16_64 3
		.amdhsa_dx10_clamp 1
		.amdhsa_ieee_mode 1
		.amdhsa_fp16_overflow 0
		.amdhsa_exception_fp_ieee_invalid_op 0
		.amdhsa_exception_fp_denorm_src 0
		.amdhsa_exception_fp_ieee_div_zero 0
		.amdhsa_exception_fp_ieee_overflow 0
		.amdhsa_exception_fp_ieee_underflow 0
		.amdhsa_exception_fp_ieee_inexact 0
		.amdhsa_exception_int_div_zero 0
	.end_amdhsa_kernel
	.section	.text._ZN9rocsolver6v33100L12laswp_kernelI19rocblas_complex_numIfEiPS3_EEvT0_T1_lS5_S5_lS5_S5_PKS5_lS5_l,"axG",@progbits,_ZN9rocsolver6v33100L12laswp_kernelI19rocblas_complex_numIfEiPS3_EEvT0_T1_lS5_S5_lS5_S5_PKS5_lS5_l,comdat
.Lfunc_end24:
	.size	_ZN9rocsolver6v33100L12laswp_kernelI19rocblas_complex_numIfEiPS3_EEvT0_T1_lS5_S5_lS5_S5_PKS5_lS5_l, .Lfunc_end24-_ZN9rocsolver6v33100L12laswp_kernelI19rocblas_complex_numIfEiPS3_EEvT0_T1_lS5_S5_lS5_S5_PKS5_lS5_l
                                        ; -- End function
	.set _ZN9rocsolver6v33100L12laswp_kernelI19rocblas_complex_numIfEiPS3_EEvT0_T1_lS5_S5_lS5_S5_PKS5_lS5_l.num_vgpr, 12
	.set _ZN9rocsolver6v33100L12laswp_kernelI19rocblas_complex_numIfEiPS3_EEvT0_T1_lS5_S5_lS5_S5_PKS5_lS5_l.num_agpr, 0
	.set _ZN9rocsolver6v33100L12laswp_kernelI19rocblas_complex_numIfEiPS3_EEvT0_T1_lS5_S5_lS5_S5_PKS5_lS5_l.numbered_sgpr, 24
	.set _ZN9rocsolver6v33100L12laswp_kernelI19rocblas_complex_numIfEiPS3_EEvT0_T1_lS5_S5_lS5_S5_PKS5_lS5_l.num_named_barrier, 0
	.set _ZN9rocsolver6v33100L12laswp_kernelI19rocblas_complex_numIfEiPS3_EEvT0_T1_lS5_S5_lS5_S5_PKS5_lS5_l.private_seg_size, 0
	.set _ZN9rocsolver6v33100L12laswp_kernelI19rocblas_complex_numIfEiPS3_EEvT0_T1_lS5_S5_lS5_S5_PKS5_lS5_l.uses_vcc, 1
	.set _ZN9rocsolver6v33100L12laswp_kernelI19rocblas_complex_numIfEiPS3_EEvT0_T1_lS5_S5_lS5_S5_PKS5_lS5_l.uses_flat_scratch, 0
	.set _ZN9rocsolver6v33100L12laswp_kernelI19rocblas_complex_numIfEiPS3_EEvT0_T1_lS5_S5_lS5_S5_PKS5_lS5_l.has_dyn_sized_stack, 0
	.set _ZN9rocsolver6v33100L12laswp_kernelI19rocblas_complex_numIfEiPS3_EEvT0_T1_lS5_S5_lS5_S5_PKS5_lS5_l.has_recursion, 0
	.set _ZN9rocsolver6v33100L12laswp_kernelI19rocblas_complex_numIfEiPS3_EEvT0_T1_lS5_S5_lS5_S5_PKS5_lS5_l.has_indirect_call, 0
	.section	.AMDGPU.csdata,"",@progbits
; Kernel info:
; codeLenInByte = 468
; TotalNumSgprs: 28
; NumVgprs: 12
; ScratchSize: 0
; MemoryBound: 0
; FloatMode: 240
; IeeeMode: 1
; LDSByteSize: 0 bytes/workgroup (compile time only)
; SGPRBlocks: 3
; VGPRBlocks: 2
; NumSGPRsForWavesPerEU: 28
; NumVGPRsForWavesPerEU: 12
; Occupancy: 10
; WaveLimiterHint : 1
; COMPUTE_PGM_RSRC2:SCRATCH_EN: 0
; COMPUTE_PGM_RSRC2:USER_SGPR: 6
; COMPUTE_PGM_RSRC2:TRAP_HANDLER: 0
; COMPUTE_PGM_RSRC2:TGID_X_EN: 1
; COMPUTE_PGM_RSRC2:TGID_Y_EN: 1
; COMPUTE_PGM_RSRC2:TGID_Z_EN: 0
; COMPUTE_PGM_RSRC2:TIDIG_COMP_CNT: 0
	.section	.text._ZN9rocsolver6v33100L6iota_nI19rocblas_complex_numIdEEEvPT_jS4_,"axG",@progbits,_ZN9rocsolver6v33100L6iota_nI19rocblas_complex_numIdEEEvPT_jS4_,comdat
	.globl	_ZN9rocsolver6v33100L6iota_nI19rocblas_complex_numIdEEEvPT_jS4_ ; -- Begin function _ZN9rocsolver6v33100L6iota_nI19rocblas_complex_numIdEEEvPT_jS4_
	.p2align	8
	.type	_ZN9rocsolver6v33100L6iota_nI19rocblas_complex_numIdEEEvPT_jS4_,@function
_ZN9rocsolver6v33100L6iota_nI19rocblas_complex_numIdEEEvPT_jS4_: ; @_ZN9rocsolver6v33100L6iota_nI19rocblas_complex_numIdEEEvPT_jS4_
; %bb.0:
	s_load_dword s0, s[4:5], 0x8
	s_waitcnt lgkmcnt(0)
	v_cmp_gt_u32_e32 vcc, s0, v0
	s_and_saveexec_b64 s[0:1], vcc
	s_cbranch_execz .LBB25_2
; %bb.1:
	s_load_dwordx4 s[0:3], s[4:5], 0x10
	v_cvt_f64_u32_e32 v[1:2], v0
	v_lshlrev_b32_e32 v0, 4, v0
	s_waitcnt lgkmcnt(0)
	v_add_f64 v[1:2], s[0:1], v[1:2]
	v_add_f64 v[3:4], s[2:3], 0
	s_load_dwordx2 s[0:1], s[4:5], 0x0
	s_waitcnt lgkmcnt(0)
	global_store_dwordx4 v0, v[1:4], s[0:1]
.LBB25_2:
	s_endpgm
	.section	.rodata,"a",@progbits
	.p2align	6, 0x0
	.amdhsa_kernel _ZN9rocsolver6v33100L6iota_nI19rocblas_complex_numIdEEEvPT_jS4_
		.amdhsa_group_segment_fixed_size 0
		.amdhsa_private_segment_fixed_size 0
		.amdhsa_kernarg_size 32
		.amdhsa_user_sgpr_count 6
		.amdhsa_user_sgpr_private_segment_buffer 1
		.amdhsa_user_sgpr_dispatch_ptr 0
		.amdhsa_user_sgpr_queue_ptr 0
		.amdhsa_user_sgpr_kernarg_segment_ptr 1
		.amdhsa_user_sgpr_dispatch_id 0
		.amdhsa_user_sgpr_flat_scratch_init 0
		.amdhsa_user_sgpr_private_segment_size 0
		.amdhsa_uses_dynamic_stack 0
		.amdhsa_system_sgpr_private_segment_wavefront_offset 0
		.amdhsa_system_sgpr_workgroup_id_x 1
		.amdhsa_system_sgpr_workgroup_id_y 0
		.amdhsa_system_sgpr_workgroup_id_z 0
		.amdhsa_system_sgpr_workgroup_info 0
		.amdhsa_system_vgpr_workitem_id 0
		.amdhsa_next_free_vgpr 5
		.amdhsa_next_free_sgpr 6
		.amdhsa_reserve_vcc 1
		.amdhsa_reserve_flat_scratch 0
		.amdhsa_float_round_mode_32 0
		.amdhsa_float_round_mode_16_64 0
		.amdhsa_float_denorm_mode_32 3
		.amdhsa_float_denorm_mode_16_64 3
		.amdhsa_dx10_clamp 1
		.amdhsa_ieee_mode 1
		.amdhsa_fp16_overflow 0
		.amdhsa_exception_fp_ieee_invalid_op 0
		.amdhsa_exception_fp_denorm_src 0
		.amdhsa_exception_fp_ieee_div_zero 0
		.amdhsa_exception_fp_ieee_overflow 0
		.amdhsa_exception_fp_ieee_underflow 0
		.amdhsa_exception_fp_ieee_inexact 0
		.amdhsa_exception_int_div_zero 0
	.end_amdhsa_kernel
	.section	.text._ZN9rocsolver6v33100L6iota_nI19rocblas_complex_numIdEEEvPT_jS4_,"axG",@progbits,_ZN9rocsolver6v33100L6iota_nI19rocblas_complex_numIdEEEvPT_jS4_,comdat
.Lfunc_end25:
	.size	_ZN9rocsolver6v33100L6iota_nI19rocblas_complex_numIdEEEvPT_jS4_, .Lfunc_end25-_ZN9rocsolver6v33100L6iota_nI19rocblas_complex_numIdEEEvPT_jS4_
                                        ; -- End function
	.set _ZN9rocsolver6v33100L6iota_nI19rocblas_complex_numIdEEEvPT_jS4_.num_vgpr, 5
	.set _ZN9rocsolver6v33100L6iota_nI19rocblas_complex_numIdEEEvPT_jS4_.num_agpr, 0
	.set _ZN9rocsolver6v33100L6iota_nI19rocblas_complex_numIdEEEvPT_jS4_.numbered_sgpr, 6
	.set _ZN9rocsolver6v33100L6iota_nI19rocblas_complex_numIdEEEvPT_jS4_.num_named_barrier, 0
	.set _ZN9rocsolver6v33100L6iota_nI19rocblas_complex_numIdEEEvPT_jS4_.private_seg_size, 0
	.set _ZN9rocsolver6v33100L6iota_nI19rocblas_complex_numIdEEEvPT_jS4_.uses_vcc, 1
	.set _ZN9rocsolver6v33100L6iota_nI19rocblas_complex_numIdEEEvPT_jS4_.uses_flat_scratch, 0
	.set _ZN9rocsolver6v33100L6iota_nI19rocblas_complex_numIdEEEvPT_jS4_.has_dyn_sized_stack, 0
	.set _ZN9rocsolver6v33100L6iota_nI19rocblas_complex_numIdEEEvPT_jS4_.has_recursion, 0
	.set _ZN9rocsolver6v33100L6iota_nI19rocblas_complex_numIdEEEvPT_jS4_.has_indirect_call, 0
	.section	.AMDGPU.csdata,"",@progbits
; Kernel info:
; codeLenInByte = 84
; TotalNumSgprs: 10
; NumVgprs: 5
; ScratchSize: 0
; MemoryBound: 0
; FloatMode: 240
; IeeeMode: 1
; LDSByteSize: 0 bytes/workgroup (compile time only)
; SGPRBlocks: 1
; VGPRBlocks: 1
; NumSGPRsForWavesPerEU: 10
; NumVGPRsForWavesPerEU: 5
; Occupancy: 10
; WaveLimiterHint : 0
; COMPUTE_PGM_RSRC2:SCRATCH_EN: 0
; COMPUTE_PGM_RSRC2:USER_SGPR: 6
; COMPUTE_PGM_RSRC2:TRAP_HANDLER: 0
; COMPUTE_PGM_RSRC2:TGID_X_EN: 1
; COMPUTE_PGM_RSRC2:TGID_Y_EN: 0
; COMPUTE_PGM_RSRC2:TGID_Z_EN: 0
; COMPUTE_PGM_RSRC2:TIDIG_COMP_CNT: 0
	.section	.text._ZN9rocsolver6v33100L17getf2_permut_initI19rocblas_complex_numIdEiEEvT0_PS4_l,"axG",@progbits,_ZN9rocsolver6v33100L17getf2_permut_initI19rocblas_complex_numIdEiEEvT0_PS4_l,comdat
	.globl	_ZN9rocsolver6v33100L17getf2_permut_initI19rocblas_complex_numIdEiEEvT0_PS4_l ; -- Begin function _ZN9rocsolver6v33100L17getf2_permut_initI19rocblas_complex_numIdEiEEvT0_PS4_l
	.p2align	8
	.type	_ZN9rocsolver6v33100L17getf2_permut_initI19rocblas_complex_numIdEiEEvT0_PS4_l,@function
_ZN9rocsolver6v33100L17getf2_permut_initI19rocblas_complex_numIdEiEEvT0_PS4_l: ; @_ZN9rocsolver6v33100L17getf2_permut_initI19rocblas_complex_numIdEiEEvT0_PS4_l
; %bb.0:
	s_load_dword s0, s[4:5], 0x24
	s_load_dword s1, s[4:5], 0x0
	s_waitcnt lgkmcnt(0)
	s_and_b32 s0, s0, 0xffff
	s_mul_i32 s6, s6, s0
	v_add_u32_e32 v0, s6, v0
	v_cmp_gt_i32_e32 vcc, s1, v0
	s_and_saveexec_b64 s[0:1], vcc
	s_cbranch_execz .LBB26_2
; %bb.1:
	s_load_dwordx4 s[0:3], s[4:5], 0x8
	s_ashr_i32 s4, s7, 31
	v_ashrrev_i32_e32 v1, 31, v0
	v_lshlrev_b64 v[1:2], 2, v[0:1]
	s_waitcnt lgkmcnt(0)
	s_mul_hi_u32 s5, s2, s7
	s_mul_i32 s4, s2, s4
	s_mul_i32 s3, s3, s7
	s_add_i32 s4, s5, s4
	s_mul_i32 s2, s2, s7
	s_add_i32 s3, s4, s3
	s_lshl_b64 s[2:3], s[2:3], 2
	s_add_u32 s0, s0, s2
	s_addc_u32 s1, s1, s3
	v_mov_b32_e32 v3, s1
	v_add_co_u32_e32 v1, vcc, s0, v1
	v_addc_co_u32_e32 v2, vcc, v3, v2, vcc
	global_store_dword v[1:2], v0, off
.LBB26_2:
	s_endpgm
	.section	.rodata,"a",@progbits
	.p2align	6, 0x0
	.amdhsa_kernel _ZN9rocsolver6v33100L17getf2_permut_initI19rocblas_complex_numIdEiEEvT0_PS4_l
		.amdhsa_group_segment_fixed_size 0
		.amdhsa_private_segment_fixed_size 0
		.amdhsa_kernarg_size 280
		.amdhsa_user_sgpr_count 6
		.amdhsa_user_sgpr_private_segment_buffer 1
		.amdhsa_user_sgpr_dispatch_ptr 0
		.amdhsa_user_sgpr_queue_ptr 0
		.amdhsa_user_sgpr_kernarg_segment_ptr 1
		.amdhsa_user_sgpr_dispatch_id 0
		.amdhsa_user_sgpr_flat_scratch_init 0
		.amdhsa_user_sgpr_private_segment_size 0
		.amdhsa_uses_dynamic_stack 0
		.amdhsa_system_sgpr_private_segment_wavefront_offset 0
		.amdhsa_system_sgpr_workgroup_id_x 1
		.amdhsa_system_sgpr_workgroup_id_y 1
		.amdhsa_system_sgpr_workgroup_id_z 0
		.amdhsa_system_sgpr_workgroup_info 0
		.amdhsa_system_vgpr_workitem_id 0
		.amdhsa_next_free_vgpr 4
		.amdhsa_next_free_sgpr 8
		.amdhsa_reserve_vcc 1
		.amdhsa_reserve_flat_scratch 0
		.amdhsa_float_round_mode_32 0
		.amdhsa_float_round_mode_16_64 0
		.amdhsa_float_denorm_mode_32 3
		.amdhsa_float_denorm_mode_16_64 3
		.amdhsa_dx10_clamp 1
		.amdhsa_ieee_mode 1
		.amdhsa_fp16_overflow 0
		.amdhsa_exception_fp_ieee_invalid_op 0
		.amdhsa_exception_fp_denorm_src 0
		.amdhsa_exception_fp_ieee_div_zero 0
		.amdhsa_exception_fp_ieee_overflow 0
		.amdhsa_exception_fp_ieee_underflow 0
		.amdhsa_exception_fp_ieee_inexact 0
		.amdhsa_exception_int_div_zero 0
	.end_amdhsa_kernel
	.section	.text._ZN9rocsolver6v33100L17getf2_permut_initI19rocblas_complex_numIdEiEEvT0_PS4_l,"axG",@progbits,_ZN9rocsolver6v33100L17getf2_permut_initI19rocblas_complex_numIdEiEEvT0_PS4_l,comdat
.Lfunc_end26:
	.size	_ZN9rocsolver6v33100L17getf2_permut_initI19rocblas_complex_numIdEiEEvT0_PS4_l, .Lfunc_end26-_ZN9rocsolver6v33100L17getf2_permut_initI19rocblas_complex_numIdEiEEvT0_PS4_l
                                        ; -- End function
	.set _ZN9rocsolver6v33100L17getf2_permut_initI19rocblas_complex_numIdEiEEvT0_PS4_l.num_vgpr, 4
	.set _ZN9rocsolver6v33100L17getf2_permut_initI19rocblas_complex_numIdEiEEvT0_PS4_l.num_agpr, 0
	.set _ZN9rocsolver6v33100L17getf2_permut_initI19rocblas_complex_numIdEiEEvT0_PS4_l.numbered_sgpr, 8
	.set _ZN9rocsolver6v33100L17getf2_permut_initI19rocblas_complex_numIdEiEEvT0_PS4_l.num_named_barrier, 0
	.set _ZN9rocsolver6v33100L17getf2_permut_initI19rocblas_complex_numIdEiEEvT0_PS4_l.private_seg_size, 0
	.set _ZN9rocsolver6v33100L17getf2_permut_initI19rocblas_complex_numIdEiEEvT0_PS4_l.uses_vcc, 1
	.set _ZN9rocsolver6v33100L17getf2_permut_initI19rocblas_complex_numIdEiEEvT0_PS4_l.uses_flat_scratch, 0
	.set _ZN9rocsolver6v33100L17getf2_permut_initI19rocblas_complex_numIdEiEEvT0_PS4_l.has_dyn_sized_stack, 0
	.set _ZN9rocsolver6v33100L17getf2_permut_initI19rocblas_complex_numIdEiEEvT0_PS4_l.has_recursion, 0
	.set _ZN9rocsolver6v33100L17getf2_permut_initI19rocblas_complex_numIdEiEEvT0_PS4_l.has_indirect_call, 0
	.section	.AMDGPU.csdata,"",@progbits
; Kernel info:
; codeLenInByte = 136
; TotalNumSgprs: 12
; NumVgprs: 4
; ScratchSize: 0
; MemoryBound: 0
; FloatMode: 240
; IeeeMode: 1
; LDSByteSize: 0 bytes/workgroup (compile time only)
; SGPRBlocks: 1
; VGPRBlocks: 0
; NumSGPRsForWavesPerEU: 12
; NumVGPRsForWavesPerEU: 4
; Occupancy: 10
; WaveLimiterHint : 0
; COMPUTE_PGM_RSRC2:SCRATCH_EN: 0
; COMPUTE_PGM_RSRC2:USER_SGPR: 6
; COMPUTE_PGM_RSRC2:TRAP_HANDLER: 0
; COMPUTE_PGM_RSRC2:TGID_X_EN: 1
; COMPUTE_PGM_RSRC2:TGID_Y_EN: 1
; COMPUTE_PGM_RSRC2:TGID_Z_EN: 0
; COMPUTE_PGM_RSRC2:TIDIG_COMP_CNT: 0
	.section	.text._ZN9rocsolver6v33100L11getf2_iamaxI19rocblas_complex_numIdEiPS3_EEvT0_T1_lS5_lPS5_,"axG",@progbits,_ZN9rocsolver6v33100L11getf2_iamaxI19rocblas_complex_numIdEiPS3_EEvT0_T1_lS5_lPS5_,comdat
	.globl	_ZN9rocsolver6v33100L11getf2_iamaxI19rocblas_complex_numIdEiPS3_EEvT0_T1_lS5_lPS5_ ; -- Begin function _ZN9rocsolver6v33100L11getf2_iamaxI19rocblas_complex_numIdEiPS3_EEvT0_T1_lS5_lPS5_
	.p2align	8
	.type	_ZN9rocsolver6v33100L11getf2_iamaxI19rocblas_complex_numIdEiPS3_EEvT0_T1_lS5_lPS5_,@function
_ZN9rocsolver6v33100L11getf2_iamaxI19rocblas_complex_numIdEiPS3_EEvT0_T1_lS5_lPS5_: ; @_ZN9rocsolver6v33100L11getf2_iamaxI19rocblas_complex_numIdEiPS3_EEvT0_T1_lS5_lPS5_
; %bb.0:
	s_load_dword s14, s[4:5], 0x0
	s_load_dwordx4 s[8:11], s[4:5], 0x20
	v_mov_b32_e32 v1, 0
	s_mov_b32 s6, s7
	s_ashr_i32 s7, s7, 31
	s_waitcnt lgkmcnt(0)
	v_cmp_gt_i32_e32 vcc, s14, v0
	v_mov_b32_e32 v2, 0
	v_bfrev_b32_e32 v5, -2
	s_and_saveexec_b64 s[12:13], vcc
	s_cbranch_execz .LBB27_4
; %bb.1:
	s_load_dwordx4 s[0:3], s[4:5], 0x8
	s_load_dword s15, s[4:5], 0x18
	s_mul_i32 s4, s8, s7
	s_mul_hi_u32 s5, s8, s6
	s_add_i32 s4, s5, s4
	s_mul_i32 s5, s9, s6
	s_add_i32 s5, s4, s5
	s_mul_i32 s4, s8, s6
	s_lshl_b64 s[4:5], s[4:5], 4
	s_waitcnt lgkmcnt(0)
	s_add_u32 s4, s0, s4
	s_addc_u32 s5, s1, s5
	s_lshl_b64 s[0:1], s[2:3], 4
	v_mul_lo_u32 v3, v0, s15
	s_add_u32 s8, s4, s0
	s_addc_u32 s0, s5, s1
	v_mov_b32_e32 v1, 0
	s_lshl_b32 s9, s15, 10
	v_bfrev_b32_e32 v5, -2
	v_mov_b32_e32 v2, 0
	s_mov_b64 s[4:5], 0
	v_mov_b32_e32 v6, s0
	s_brev_b32 s15, -2
	v_mov_b32_e32 v7, v0
.LBB27_2:                               ; =>This Inner Loop Header: Depth=1
	v_ashrrev_i32_e32 v4, 31, v3
	v_lshlrev_b64 v[8:9], 4, v[3:4]
	v_add_u32_e32 v3, s9, v3
	v_add_co_u32_e32 v8, vcc, s8, v8
	v_addc_co_u32_e32 v9, vcc, v6, v9, vcc
	global_load_dwordx4 v[8:11], v[8:9], off
	s_waitcnt vmcnt(0)
	v_cmp_gt_f64_e32 vcc, 0, v[10:11]
	v_cmp_gt_f64_e64 s[0:1], 0, v[8:9]
	v_xor_b32_e32 v4, 0x80000000, v9
	v_xor_b32_e32 v12, 0x80000000, v11
	v_cndmask_b32_e32 v11, v11, v12, vcc
	v_cndmask_b32_e64 v9, v9, v4, s[0:1]
	v_add_f64 v[8:9], v[8:9], v[10:11]
	v_cmp_eq_u32_e64 s[0:1], s15, v5
	v_add_u32_e32 v4, 1, v7
	v_add_u32_e32 v7, 0x400, v7
	v_cmp_le_i32_e64 s[2:3], s14, v7
	v_cmp_lt_f64_e32 vcc, v[1:2], v[8:9]
	s_or_b64 vcc, vcc, s[0:1]
	v_cndmask_b32_e32 v5, v5, v4, vcc
	v_cndmask_b32_e32 v2, v2, v9, vcc
	s_or_b64 s[4:5], s[2:3], s[4:5]
	v_cndmask_b32_e32 v1, v1, v8, vcc
	s_andn2_b64 exec, exec, s[4:5]
	s_cbranch_execnz .LBB27_2
; %bb.3:
	s_or_b64 exec, exec, s[4:5]
.LBB27_4:
	s_or_b64 exec, exec, s[12:13]
	v_lshlrev_b32_e32 v6, 3, v0
	v_lshlrev_b32_e32 v3, 2, v0
	s_cmp_lt_i32 s14, 2
	ds_write_b64 v6, v[1:2]
	ds_write_b32 v3, v5 offset:8192
	s_waitcnt lgkmcnt(0)
	s_barrier
	s_cbranch_scc0 .LBB27_7
; %bb.5:
	v_cmp_eq_u32_e32 vcc, 0, v0
	s_and_saveexec_b64 s[0:1], vcc
	s_cbranch_execnz .LBB27_53
.LBB27_6:
	s_endpgm
.LBB27_7:
	s_movk_i32 s0, 0x200
	v_or_b32_e32 v7, 0x2000, v3
	v_cmp_gt_u32_e32 vcc, s0, v0
	s_and_saveexec_b64 s[2:3], vcc
	s_cbranch_execz .LBB27_13
; %bb.8:
	ds_read_b64 v[3:4], v6 offset:4096
	ds_read_b32 v8, v7 offset:2048
	s_waitcnt lgkmcnt(1)
	v_cmp_lt_f64_e64 s[4:5], v[1:2], v[3:4]
	v_cmp_nlt_f64_e32 vcc, v[1:2], v[3:4]
	s_and_saveexec_b64 s[8:9], vcc
	s_cbranch_execz .LBB27_10
; %bb.9:
	v_cmp_eq_f64_e32 vcc, v[1:2], v[3:4]
	s_waitcnt lgkmcnt(0)
	v_cmp_gt_i32_e64 s[0:1], v5, v8
	s_andn2_b64 s[4:5], s[4:5], exec
	s_and_b64 s[0:1], vcc, s[0:1]
	s_and_b64 s[0:1], s[0:1], exec
	s_or_b64 s[4:5], s[4:5], s[0:1]
.LBB27_10:
	s_or_b64 exec, exec, s[8:9]
	s_and_saveexec_b64 s[0:1], s[4:5]
	s_cbranch_execz .LBB27_12
; %bb.11:
	v_mov_b32_e32 v1, v3
	v_mov_b32_e32 v2, v4
	s_waitcnt lgkmcnt(0)
	v_mov_b32_e32 v5, v8
	ds_write_b64 v6, v[3:4]
	ds_write_b32 v7, v8
.LBB27_12:
	s_or_b64 exec, exec, s[0:1]
.LBB27_13:
	s_or_b64 exec, exec, s[2:3]
	s_movk_i32 s0, 0x100
	v_cmp_gt_u32_e32 vcc, s0, v0
	s_waitcnt lgkmcnt(0)
	s_barrier
	s_and_saveexec_b64 s[2:3], vcc
	s_cbranch_execz .LBB27_19
; %bb.14:
	ds_read_b64 v[3:4], v6 offset:2048
	ds_read_b32 v8, v7 offset:1024
	s_waitcnt lgkmcnt(1)
	v_cmp_lt_f64_e64 s[4:5], v[1:2], v[3:4]
	v_cmp_nlt_f64_e32 vcc, v[1:2], v[3:4]
	s_and_saveexec_b64 s[8:9], vcc
	s_cbranch_execz .LBB27_16
; %bb.15:
	v_cmp_eq_f64_e32 vcc, v[1:2], v[3:4]
	s_waitcnt lgkmcnt(0)
	v_cmp_gt_i32_e64 s[0:1], v5, v8
	s_andn2_b64 s[4:5], s[4:5], exec
	s_and_b64 s[0:1], vcc, s[0:1]
	s_and_b64 s[0:1], s[0:1], exec
	s_or_b64 s[4:5], s[4:5], s[0:1]
.LBB27_16:
	s_or_b64 exec, exec, s[8:9]
	s_and_saveexec_b64 s[0:1], s[4:5]
	s_cbranch_execz .LBB27_18
; %bb.17:
	v_mov_b32_e32 v1, v3
	v_mov_b32_e32 v2, v4
	s_waitcnt lgkmcnt(0)
	v_mov_b32_e32 v5, v8
	ds_write_b64 v6, v[3:4]
	ds_write_b32 v7, v8
.LBB27_18:
	s_or_b64 exec, exec, s[0:1]
.LBB27_19:
	s_or_b64 exec, exec, s[2:3]
	s_movk_i32 s0, 0x80
	v_cmp_gt_u32_e32 vcc, s0, v0
	s_waitcnt lgkmcnt(0)
	s_barrier
	s_and_saveexec_b64 s[2:3], vcc
	s_cbranch_execz .LBB27_25
; %bb.20:
	ds_read_b64 v[3:4], v6 offset:1024
	ds_read_b32 v8, v7 offset:512
	s_waitcnt lgkmcnt(1)
	v_cmp_lt_f64_e64 s[4:5], v[1:2], v[3:4]
	v_cmp_nlt_f64_e32 vcc, v[1:2], v[3:4]
	s_and_saveexec_b64 s[8:9], vcc
	s_cbranch_execz .LBB27_22
; %bb.21:
	v_cmp_eq_f64_e32 vcc, v[1:2], v[3:4]
	s_waitcnt lgkmcnt(0)
	v_cmp_gt_i32_e64 s[0:1], v5, v8
	s_andn2_b64 s[4:5], s[4:5], exec
	s_and_b64 s[0:1], vcc, s[0:1]
	s_and_b64 s[0:1], s[0:1], exec
	s_or_b64 s[4:5], s[4:5], s[0:1]
.LBB27_22:
	s_or_b64 exec, exec, s[8:9]
	s_and_saveexec_b64 s[0:1], s[4:5]
	s_cbranch_execz .LBB27_24
; %bb.23:
	v_mov_b32_e32 v1, v3
	v_mov_b32_e32 v2, v4
	s_waitcnt lgkmcnt(0)
	v_mov_b32_e32 v5, v8
	ds_write_b64 v6, v[3:4]
	ds_write_b32 v7, v8
.LBB27_24:
	s_or_b64 exec, exec, s[0:1]
.LBB27_25:
	s_or_b64 exec, exec, s[2:3]
	v_cmp_gt_u32_e32 vcc, 64, v0
	s_waitcnt lgkmcnt(0)
	s_barrier
	s_and_saveexec_b64 s[4:5], vcc
	s_cbranch_execz .LBB27_52
; %bb.26:
	ds_read_b64 v[3:4], v6 offset:512
	ds_read_b32 v8, v7 offset:256
	s_waitcnt lgkmcnt(1)
	v_cmp_lt_f64_e64 s[2:3], v[1:2], v[3:4]
	v_cmp_nlt_f64_e32 vcc, v[1:2], v[3:4]
	s_and_saveexec_b64 s[8:9], vcc
	s_cbranch_execz .LBB27_28
; %bb.27:
	v_cmp_eq_f64_e32 vcc, v[1:2], v[3:4]
	s_waitcnt lgkmcnt(0)
	v_cmp_gt_i32_e64 s[0:1], v5, v8
	s_andn2_b64 s[2:3], s[2:3], exec
	s_and_b64 s[0:1], vcc, s[0:1]
	s_and_b64 s[0:1], s[0:1], exec
	s_or_b64 s[2:3], s[2:3], s[0:1]
.LBB27_28:
	s_or_b64 exec, exec, s[8:9]
	s_and_saveexec_b64 s[0:1], s[2:3]
	s_cbranch_execz .LBB27_30
; %bb.29:
	v_mov_b32_e32 v1, v3
	s_waitcnt lgkmcnt(0)
	v_mov_b32_e32 v5, v8
	v_mov_b32_e32 v2, v4
	ds_write_b64 v6, v[3:4]
	ds_write_b32 v7, v8
.LBB27_30:
	s_or_b64 exec, exec, s[0:1]
	ds_read_b64 v[3:4], v6 offset:256
	s_waitcnt lgkmcnt(1)
	ds_read_b32 v8, v7 offset:128
	s_waitcnt lgkmcnt(1)
	v_cmp_lt_f64_e64 s[2:3], v[1:2], v[3:4]
	v_cmp_nlt_f64_e32 vcc, v[1:2], v[3:4]
	s_and_saveexec_b64 s[8:9], vcc
	s_cbranch_execz .LBB27_32
; %bb.31:
	v_cmp_eq_f64_e32 vcc, v[1:2], v[3:4]
	s_waitcnt lgkmcnt(0)
	v_cmp_gt_i32_e64 s[0:1], v5, v8
	s_andn2_b64 s[2:3], s[2:3], exec
	s_and_b64 s[0:1], vcc, s[0:1]
	s_and_b64 s[0:1], s[0:1], exec
	s_or_b64 s[2:3], s[2:3], s[0:1]
.LBB27_32:
	s_or_b64 exec, exec, s[8:9]
	s_and_saveexec_b64 s[0:1], s[2:3]
	s_cbranch_execz .LBB27_34
; %bb.33:
	v_mov_b32_e32 v1, v3
	s_waitcnt lgkmcnt(0)
	v_mov_b32_e32 v5, v8
	v_mov_b32_e32 v2, v4
	ds_write_b64 v6, v[3:4]
	ds_write_b32 v7, v8
.LBB27_34:
	s_or_b64 exec, exec, s[0:1]
	ds_read_b64 v[3:4], v6 offset:128
	s_waitcnt lgkmcnt(1)
	;; [unrolled: 29-line block ×6, first 2 shown]
	ds_read_b32 v8, v7 offset:4
	s_waitcnt lgkmcnt(1)
	v_cmp_eq_f64_e32 vcc, v[1:2], v[3:4]
	v_cmp_lt_f64_e64 s[0:1], v[1:2], v[3:4]
	s_waitcnt lgkmcnt(0)
	v_cmp_gt_i32_e64 s[2:3], v5, v8
	s_and_b64 s[2:3], vcc, s[2:3]
	s_or_b64 s[0:1], s[0:1], s[2:3]
	s_and_b64 exec, exec, s[0:1]
	s_cbranch_execz .LBB27_52
; %bb.51:
	ds_write_b64 v6, v[3:4]
	ds_write_b32 v7, v8
.LBB27_52:
	s_or_b64 exec, exec, s[4:5]
	v_cmp_eq_u32_e32 vcc, 0, v0
	s_and_saveexec_b64 s[0:1], vcc
	s_cbranch_execz .LBB27_6
.LBB27_53:
	v_mov_b32_e32 v0, 0
	ds_read_b32 v1, v0 offset:8192
	s_lshl_b64 s[0:1], s[6:7], 2
	s_add_u32 s0, s10, s0
	s_addc_u32 s1, s11, s1
	s_waitcnt lgkmcnt(0)
	global_store_dword v0, v1, s[0:1]
	s_endpgm
	.section	.rodata,"a",@progbits
	.p2align	6, 0x0
	.amdhsa_kernel _ZN9rocsolver6v33100L11getf2_iamaxI19rocblas_complex_numIdEiPS3_EEvT0_T1_lS5_lPS5_
		.amdhsa_group_segment_fixed_size 12288
		.amdhsa_private_segment_fixed_size 0
		.amdhsa_kernarg_size 48
		.amdhsa_user_sgpr_count 6
		.amdhsa_user_sgpr_private_segment_buffer 1
		.amdhsa_user_sgpr_dispatch_ptr 0
		.amdhsa_user_sgpr_queue_ptr 0
		.amdhsa_user_sgpr_kernarg_segment_ptr 1
		.amdhsa_user_sgpr_dispatch_id 0
		.amdhsa_user_sgpr_flat_scratch_init 0
		.amdhsa_user_sgpr_private_segment_size 0
		.amdhsa_uses_dynamic_stack 0
		.amdhsa_system_sgpr_private_segment_wavefront_offset 0
		.amdhsa_system_sgpr_workgroup_id_x 1
		.amdhsa_system_sgpr_workgroup_id_y 1
		.amdhsa_system_sgpr_workgroup_id_z 0
		.amdhsa_system_sgpr_workgroup_info 0
		.amdhsa_system_vgpr_workitem_id 0
		.amdhsa_next_free_vgpr 29
		.amdhsa_next_free_sgpr 61
		.amdhsa_reserve_vcc 1
		.amdhsa_reserve_flat_scratch 0
		.amdhsa_float_round_mode_32 0
		.amdhsa_float_round_mode_16_64 0
		.amdhsa_float_denorm_mode_32 3
		.amdhsa_float_denorm_mode_16_64 3
		.amdhsa_dx10_clamp 1
		.amdhsa_ieee_mode 1
		.amdhsa_fp16_overflow 0
		.amdhsa_exception_fp_ieee_invalid_op 0
		.amdhsa_exception_fp_denorm_src 0
		.amdhsa_exception_fp_ieee_div_zero 0
		.amdhsa_exception_fp_ieee_overflow 0
		.amdhsa_exception_fp_ieee_underflow 0
		.amdhsa_exception_fp_ieee_inexact 0
		.amdhsa_exception_int_div_zero 0
	.end_amdhsa_kernel
	.section	.text._ZN9rocsolver6v33100L11getf2_iamaxI19rocblas_complex_numIdEiPS3_EEvT0_T1_lS5_lPS5_,"axG",@progbits,_ZN9rocsolver6v33100L11getf2_iamaxI19rocblas_complex_numIdEiPS3_EEvT0_T1_lS5_lPS5_,comdat
.Lfunc_end27:
	.size	_ZN9rocsolver6v33100L11getf2_iamaxI19rocblas_complex_numIdEiPS3_EEvT0_T1_lS5_lPS5_, .Lfunc_end27-_ZN9rocsolver6v33100L11getf2_iamaxI19rocblas_complex_numIdEiPS3_EEvT0_T1_lS5_lPS5_
                                        ; -- End function
	.set _ZN9rocsolver6v33100L11getf2_iamaxI19rocblas_complex_numIdEiPS3_EEvT0_T1_lS5_lPS5_.num_vgpr, 13
	.set _ZN9rocsolver6v33100L11getf2_iamaxI19rocblas_complex_numIdEiPS3_EEvT0_T1_lS5_lPS5_.num_agpr, 0
	.set _ZN9rocsolver6v33100L11getf2_iamaxI19rocblas_complex_numIdEiPS3_EEvT0_T1_lS5_lPS5_.numbered_sgpr, 16
	.set _ZN9rocsolver6v33100L11getf2_iamaxI19rocblas_complex_numIdEiPS3_EEvT0_T1_lS5_lPS5_.num_named_barrier, 0
	.set _ZN9rocsolver6v33100L11getf2_iamaxI19rocblas_complex_numIdEiPS3_EEvT0_T1_lS5_lPS5_.private_seg_size, 0
	.set _ZN9rocsolver6v33100L11getf2_iamaxI19rocblas_complex_numIdEiPS3_EEvT0_T1_lS5_lPS5_.uses_vcc, 1
	.set _ZN9rocsolver6v33100L11getf2_iamaxI19rocblas_complex_numIdEiPS3_EEvT0_T1_lS5_lPS5_.uses_flat_scratch, 0
	.set _ZN9rocsolver6v33100L11getf2_iamaxI19rocblas_complex_numIdEiPS3_EEvT0_T1_lS5_lPS5_.has_dyn_sized_stack, 0
	.set _ZN9rocsolver6v33100L11getf2_iamaxI19rocblas_complex_numIdEiPS3_EEvT0_T1_lS5_lPS5_.has_recursion, 0
	.set _ZN9rocsolver6v33100L11getf2_iamaxI19rocblas_complex_numIdEiPS3_EEvT0_T1_lS5_lPS5_.has_indirect_call, 0
	.section	.AMDGPU.csdata,"",@progbits
; Kernel info:
; codeLenInByte = 1708
; TotalNumSgprs: 20
; NumVgprs: 13
; ScratchSize: 0
; MemoryBound: 0
; FloatMode: 240
; IeeeMode: 1
; LDSByteSize: 12288 bytes/workgroup (compile time only)
; SGPRBlocks: 8
; VGPRBlocks: 7
; NumSGPRsForWavesPerEU: 65
; NumVGPRsForWavesPerEU: 29
; Occupancy: 8
; WaveLimiterHint : 0
; COMPUTE_PGM_RSRC2:SCRATCH_EN: 0
; COMPUTE_PGM_RSRC2:USER_SGPR: 6
; COMPUTE_PGM_RSRC2:TRAP_HANDLER: 0
; COMPUTE_PGM_RSRC2:TGID_X_EN: 1
; COMPUTE_PGM_RSRC2:TGID_Y_EN: 1
; COMPUTE_PGM_RSRC2:TGID_Z_EN: 0
; COMPUTE_PGM_RSRC2:TIDIG_COMP_CNT: 0
	.section	.text._ZN9rocsolver6v33100L23getf2_check_singularityI19rocblas_complex_numIdEiiPS3_EEvT0_S5_T2_lS5_S5_lPS5_llPT_S7_PT1_S5_S7_l,"axG",@progbits,_ZN9rocsolver6v33100L23getf2_check_singularityI19rocblas_complex_numIdEiiPS3_EEvT0_S5_T2_lS5_S5_lPS5_llPT_S7_PT1_S5_S7_l,comdat
	.globl	_ZN9rocsolver6v33100L23getf2_check_singularityI19rocblas_complex_numIdEiiPS3_EEvT0_S5_T2_lS5_S5_lPS5_llPT_S7_PT1_S5_S7_l ; -- Begin function _ZN9rocsolver6v33100L23getf2_check_singularityI19rocblas_complex_numIdEiiPS3_EEvT0_S5_T2_lS5_S5_lPS5_llPT_S7_PT1_S5_S7_l
	.p2align	8
	.type	_ZN9rocsolver6v33100L23getf2_check_singularityI19rocblas_complex_numIdEiiPS3_EEvT0_S5_T2_lS5_S5_lPS5_llPT_S7_PT1_S5_S7_l,@function
_ZN9rocsolver6v33100L23getf2_check_singularityI19rocblas_complex_numIdEiiPS3_EEvT0_S5_T2_lS5_S5_lPS5_llPT_S7_PT1_S5_S7_l: ; @_ZN9rocsolver6v33100L23getf2_check_singularityI19rocblas_complex_numIdEiiPS3_EEvT0_S5_T2_lS5_S5_lPS5_llPT_S7_PT1_S5_S7_l
; %bb.0:
	s_load_dword s0, s[6:7], 0x7c
	s_load_dwordx2 s[24:25], s[6:7], 0x0
	s_waitcnt lgkmcnt(0)
	s_and_b32 s0, s0, 0xffff
	s_mul_i32 s8, s8, s0
	v_add_u32_e32 v3, s8, v0
	v_cmp_gt_i32_e32 vcc, s24, v3
	s_and_saveexec_b64 s[0:1], vcc
	s_cbranch_execz .LBB28_14
; %bb.1:
	s_mov_b32 s26, s9
	s_load_dwordx8 s[8:15], s[6:7], 0x20
	s_load_dwordx4 s[0:3], s[6:7], 0x8
	s_load_dwordx2 s[28:29], s[6:7], 0x18
	s_load_dwordx4 s[16:19], s[6:7], 0x40
	s_ashr_i32 s27, s26, 31
	s_waitcnt lgkmcnt(0)
	s_mul_hi_u32 s20, s8, s26
	s_mul_i32 s21, s8, s27
	s_add_i32 s20, s20, s21
	s_mul_i32 s9, s9, s26
	s_add_i32 s9, s20, s9
	s_mul_i32 s8, s8, s26
	s_lshl_b64 s[8:9], s[8:9], 4
	s_add_u32 s8, s0, s8
	s_addc_u32 s9, s1, s9
	s_lshl_b64 s[0:1], s[2:3], 4
	s_add_u32 s24, s8, s0
	s_addc_u32 s33, s9, s1
	;; [unrolled: 3-line block ×3, first 2 shown]
	s_load_dword s18, s[0:1], 0x0
	s_waitcnt lgkmcnt(0)
	s_add_i32 s19, s18, s25
	s_add_i32 s0, s19, -1
	s_cmp_eq_u32 s0, s25
	s_cselect_b64 s[30:31], -1, 0
	s_and_b64 vcc, exec, s[30:31]
	s_cbranch_vccnz .LBB28_3
; %bb.2:
	v_mul_lo_u32 v6, v3, s29
	s_mul_i32 s1, s28, s25
	s_mul_i32 s0, s0, s28
	v_mov_b32_e32 v7, s33
	v_add_u32_e32 v4, s1, v6
	v_ashrrev_i32_e32 v5, 31, v4
	v_lshlrev_b64 v[4:5], 4, v[4:5]
	v_add_co_u32_e32 v12, vcc, s24, v4
	v_add_u32_e32 v4, s0, v6
	v_addc_co_u32_e32 v13, vcc, v7, v5, vcc
	v_ashrrev_i32_e32 v5, 31, v4
	v_lshlrev_b64 v[4:5], 4, v[4:5]
	v_mov_b32_e32 v6, s33
	v_add_co_u32_e32 v14, vcc, s24, v4
	v_addc_co_u32_e32 v15, vcc, v6, v5, vcc
	global_load_dwordx4 v[4:7], v[12:13], off
	global_load_dwordx4 v[8:11], v[14:15], off
	s_load_dwordx2 s[0:1], s[4:5], 0x4
	s_waitcnt lgkmcnt(0)
	s_lshr_b32 s0, s0, 16
	s_mul_i32 s0, s0, s1
	v_mul_lo_u32 v0, s0, v0
	v_mad_u32_u24 v0, v1, s1, v0
	v_add_lshl_u32 v0, v0, v2, 4
	s_waitcnt vmcnt(1)
	ds_write2_b64 v0, v[4:5], v[6:7] offset1:1
	s_waitcnt vmcnt(0)
	global_store_dwordx4 v[12:13], v[8:11], off
	global_store_dwordx4 v[14:15], v[4:7], off
.LBB28_3:
	v_cmp_eq_u32_e32 vcc, s25, v3
	s_and_b64 exec, exec, vcc
	s_cbranch_execz .LBB28_14
; %bb.4:
	s_mul_i32 s4, s14, s27
	s_mul_hi_u32 s5, s14, s26
	s_add_i32 s4, s5, s4
	s_mul_i32 s5, s15, s26
	s_add_i32 s5, s4, s5
	s_mul_i32 s4, s14, s26
	s_load_dwordx4 s[20:23], s[6:7], 0x50
	s_lshl_b64 s[4:5], s[4:5], 2
	s_waitcnt lgkmcnt(0)
	s_load_dword s22, s[6:7], 0x58
	s_load_dwordx4 s[0:3], s[6:7], 0x60
	s_add_u32 s6, s10, s4
	s_addc_u32 s7, s11, s5
	s_lshl_b64 s[4:5], s[12:13], 2
	s_add_u32 s6, s6, s4
	s_addc_u32 s7, s7, s5
	s_ashr_i32 s5, s25, 31
	s_mov_b32 s4, s25
	s_waitcnt lgkmcnt(0)
	s_add_i32 s10, s19, s22
	s_lshl_b64 s[4:5], s[4:5], 2
	s_add_u32 s6, s6, s4
	s_addc_u32 s7, s7, s5
	v_mov_b32_e32 v0, 0
	v_mov_b32_e32 v1, s10
	s_cmp_eq_u64 s[0:1], 0
	global_store_dword v0, v1, s[6:7]
	s_cselect_b64 s[6:7], -1, 0
	s_or_b64 s[6:7], s[6:7], s[30:31]
	s_and_b64 vcc, exec, s[6:7]
	s_cbranch_vccnz .LBB28_6
; %bb.5:
	s_mul_i32 s6, s2, s27
	s_mul_hi_u32 s7, s2, s26
	s_add_i32 s6, s7, s6
	s_mul_i32 s3, s3, s26
	s_add_i32 s3, s6, s3
	s_mul_i32 s2, s2, s26
	s_lshl_b64 s[2:3], s[2:3], 2
	s_add_u32 s0, s0, s2
	s_addc_u32 s1, s1, s3
	s_add_u32 s0, s0, s4
	s_addc_u32 s1, s1, s5
	s_ashr_i32 s19, s18, 31
	s_lshl_b64 s[2:3], s[18:19], 2
	s_add_u32 s2, s0, s2
	s_addc_u32 s3, s1, s3
	global_load_dword v1, v0, s[2:3] offset:-4
	global_load_dword v2, v0, s[0:1]
	s_waitcnt vmcnt(1)
	global_store_dword v0, v1, s[0:1]
	s_waitcnt vmcnt(1)
	global_store_dword v0, v2, s[2:3] offset:-4
.LBB28_6:
	s_add_i32 s0, s29, s28
	s_mul_i32 s0, s0, s25
	s_ashr_i32 s1, s0, 31
	s_lshl_b64 s[0:1], s[0:1], 4
	s_add_u32 s0, s24, s0
	s_addc_u32 s1, s33, s1
	global_load_dwordx4 v[0:3], v0, s[0:1]
	s_waitcnt vmcnt(0)
	v_cmp_eq_f64_e32 vcc, 0, v[0:1]
	v_cmp_eq_f64_e64 s[0:1], 0, v[2:3]
	s_and_b64 s[0:1], vcc, s[0:1]
	s_andn2_b64 vcc, exec, s[0:1]
	s_mov_b64 s[0:1], -1
	s_cbranch_vccz .LBB28_12
; %bb.7:
	v_cmp_ngt_f64_e64 s[0:1], |v[0:1]|, |v[2:3]|
	s_and_b64 vcc, exec, s[0:1]
	s_cbranch_vccz .LBB28_9
; %bb.8:
	v_div_scale_f64 v[4:5], s[0:1], v[2:3], v[2:3], v[0:1]
	v_rcp_f64_e32 v[6:7], v[4:5]
	v_fma_f64 v[8:9], -v[4:5], v[6:7], 1.0
	v_fma_f64 v[6:7], v[6:7], v[8:9], v[6:7]
	v_div_scale_f64 v[8:9], vcc, v[0:1], v[2:3], v[0:1]
	v_fma_f64 v[10:11], -v[4:5], v[6:7], 1.0
	v_fma_f64 v[6:7], v[6:7], v[10:11], v[6:7]
	v_mul_f64 v[10:11], v[8:9], v[6:7]
	v_fma_f64 v[4:5], -v[4:5], v[10:11], v[8:9]
	v_div_fmas_f64 v[4:5], v[4:5], v[6:7], v[10:11]
	v_div_fixup_f64 v[4:5], v[4:5], v[2:3], v[0:1]
	v_fma_f64 v[6:7], v[0:1], v[4:5], v[2:3]
	v_div_scale_f64 v[8:9], s[0:1], v[6:7], v[6:7], 1.0
	v_div_scale_f64 v[14:15], vcc, 1.0, v[6:7], 1.0
	v_rcp_f64_e32 v[10:11], v[8:9]
	v_fma_f64 v[12:13], -v[8:9], v[10:11], 1.0
	v_fma_f64 v[10:11], v[10:11], v[12:13], v[10:11]
	v_fma_f64 v[12:13], -v[8:9], v[10:11], 1.0
	v_fma_f64 v[10:11], v[10:11], v[12:13], v[10:11]
	v_mul_f64 v[12:13], v[14:15], v[10:11]
	v_fma_f64 v[8:9], -v[8:9], v[12:13], v[14:15]
	v_div_fmas_f64 v[8:9], v[8:9], v[10:11], v[12:13]
	v_div_fixup_f64 v[6:7], v[8:9], v[6:7], 1.0
	v_mul_f64 v[4:5], v[4:5], v[6:7]
	v_xor_b32_e32 v7, 0x80000000, v7
	s_cbranch_execz .LBB28_10
	s_branch .LBB28_11
.LBB28_9:
                                        ; implicit-def: $vgpr4_vgpr5
.LBB28_10:
	v_div_scale_f64 v[4:5], s[0:1], v[0:1], v[0:1], v[2:3]
	v_rcp_f64_e32 v[6:7], v[4:5]
	v_fma_f64 v[8:9], -v[4:5], v[6:7], 1.0
	v_fma_f64 v[6:7], v[6:7], v[8:9], v[6:7]
	v_div_scale_f64 v[8:9], vcc, v[2:3], v[0:1], v[2:3]
	v_fma_f64 v[10:11], -v[4:5], v[6:7], 1.0
	v_fma_f64 v[6:7], v[6:7], v[10:11], v[6:7]
	v_mul_f64 v[10:11], v[8:9], v[6:7]
	v_fma_f64 v[4:5], -v[4:5], v[10:11], v[8:9]
	v_div_fmas_f64 v[4:5], v[4:5], v[6:7], v[10:11]
	v_div_fixup_f64 v[6:7], v[4:5], v[0:1], v[2:3]
	v_fma_f64 v[0:1], v[2:3], v[6:7], v[0:1]
	v_div_scale_f64 v[2:3], s[0:1], v[0:1], v[0:1], 1.0
	v_div_scale_f64 v[10:11], vcc, 1.0, v[0:1], 1.0
	v_rcp_f64_e32 v[4:5], v[2:3]
	v_fma_f64 v[8:9], -v[2:3], v[4:5], 1.0
	v_fma_f64 v[4:5], v[4:5], v[8:9], v[4:5]
	v_fma_f64 v[8:9], -v[2:3], v[4:5], 1.0
	v_fma_f64 v[4:5], v[4:5], v[8:9], v[4:5]
	v_mul_f64 v[8:9], v[10:11], v[4:5]
	v_fma_f64 v[2:3], -v[2:3], v[8:9], v[10:11]
	v_div_fmas_f64 v[2:3], v[2:3], v[4:5], v[8:9]
	v_div_fixup_f64 v[4:5], v[2:3], v[0:1], 1.0
	v_mul_f64 v[6:7], v[6:7], -v[4:5]
.LBB28_11:
	s_lshl_b64 s[0:1], s[26:27], 4
	s_add_u32 s0, s16, s0
	s_addc_u32 s1, s17, s1
	v_mov_b32_e32 v0, 0
	global_store_dwordx4 v0, v[4:7], s[0:1]
	s_mov_b64 s[0:1], 0
.LBB28_12:
	s_and_b64 vcc, exec, s[0:1]
	s_cbranch_vccz .LBB28_14
; %bb.13:
	s_lshl_b64 s[0:1], s[26:27], 4
	s_add_u32 s2, s16, s0
	s_addc_u32 s3, s17, s1
	s_add_u32 s0, s20, s8
	v_mov_b32_e32 v0, 0
	s_addc_u32 s1, s21, s9
	global_load_dword v4, v0, s[0:1]
	v_mov_b32_e32 v1, 0x3ff00000
	v_mov_b32_e32 v2, v0
	;; [unrolled: 1-line block ×3, first 2 shown]
	global_store_dwordx4 v0, v[0:3], s[2:3]
	s_waitcnt vmcnt(1)
	v_cmp_ne_u32_e32 vcc, 0, v4
	s_cbranch_vccz .LBB28_15
.LBB28_14:
	s_endpgm
.LBB28_15:
	s_add_i32 s2, s25, s22
	s_add_i32 s2, s2, 1
	v_mov_b32_e32 v1, s2
	global_store_dword v0, v1, s[0:1]
	s_endpgm
	.section	.rodata,"a",@progbits
	.p2align	6, 0x0
	.amdhsa_kernel _ZN9rocsolver6v33100L23getf2_check_singularityI19rocblas_complex_numIdEiiPS3_EEvT0_S5_T2_lS5_S5_lPS5_llPT_S7_PT1_S5_S7_l
		.amdhsa_group_segment_fixed_size 16384
		.amdhsa_private_segment_fixed_size 0
		.amdhsa_kernarg_size 368
		.amdhsa_user_sgpr_count 8
		.amdhsa_user_sgpr_private_segment_buffer 1
		.amdhsa_user_sgpr_dispatch_ptr 1
		.amdhsa_user_sgpr_queue_ptr 0
		.amdhsa_user_sgpr_kernarg_segment_ptr 1
		.amdhsa_user_sgpr_dispatch_id 0
		.amdhsa_user_sgpr_flat_scratch_init 0
		.amdhsa_user_sgpr_private_segment_size 0
		.amdhsa_uses_dynamic_stack 0
		.amdhsa_system_sgpr_private_segment_wavefront_offset 0
		.amdhsa_system_sgpr_workgroup_id_x 1
		.amdhsa_system_sgpr_workgroup_id_y 1
		.amdhsa_system_sgpr_workgroup_id_z 0
		.amdhsa_system_sgpr_workgroup_info 0
		.amdhsa_system_vgpr_workitem_id 2
		.amdhsa_next_free_vgpr 16
		.amdhsa_next_free_sgpr 34
		.amdhsa_reserve_vcc 1
		.amdhsa_reserve_flat_scratch 0
		.amdhsa_float_round_mode_32 0
		.amdhsa_float_round_mode_16_64 0
		.amdhsa_float_denorm_mode_32 3
		.amdhsa_float_denorm_mode_16_64 3
		.amdhsa_dx10_clamp 1
		.amdhsa_ieee_mode 1
		.amdhsa_fp16_overflow 0
		.amdhsa_exception_fp_ieee_invalid_op 0
		.amdhsa_exception_fp_denorm_src 0
		.amdhsa_exception_fp_ieee_div_zero 0
		.amdhsa_exception_fp_ieee_overflow 0
		.amdhsa_exception_fp_ieee_underflow 0
		.amdhsa_exception_fp_ieee_inexact 0
		.amdhsa_exception_int_div_zero 0
	.end_amdhsa_kernel
	.section	.text._ZN9rocsolver6v33100L23getf2_check_singularityI19rocblas_complex_numIdEiiPS3_EEvT0_S5_T2_lS5_S5_lPS5_llPT_S7_PT1_S5_S7_l,"axG",@progbits,_ZN9rocsolver6v33100L23getf2_check_singularityI19rocblas_complex_numIdEiiPS3_EEvT0_S5_T2_lS5_S5_lPS5_llPT_S7_PT1_S5_S7_l,comdat
.Lfunc_end28:
	.size	_ZN9rocsolver6v33100L23getf2_check_singularityI19rocblas_complex_numIdEiiPS3_EEvT0_S5_T2_lS5_S5_lPS5_llPT_S7_PT1_S5_S7_l, .Lfunc_end28-_ZN9rocsolver6v33100L23getf2_check_singularityI19rocblas_complex_numIdEiiPS3_EEvT0_S5_T2_lS5_S5_lPS5_llPT_S7_PT1_S5_S7_l
                                        ; -- End function
	.set _ZN9rocsolver6v33100L23getf2_check_singularityI19rocblas_complex_numIdEiiPS3_EEvT0_S5_T2_lS5_S5_lPS5_llPT_S7_PT1_S5_S7_l.num_vgpr, 16
	.set _ZN9rocsolver6v33100L23getf2_check_singularityI19rocblas_complex_numIdEiiPS3_EEvT0_S5_T2_lS5_S5_lPS5_llPT_S7_PT1_S5_S7_l.num_agpr, 0
	.set _ZN9rocsolver6v33100L23getf2_check_singularityI19rocblas_complex_numIdEiiPS3_EEvT0_S5_T2_lS5_S5_lPS5_llPT_S7_PT1_S5_S7_l.numbered_sgpr, 34
	.set _ZN9rocsolver6v33100L23getf2_check_singularityI19rocblas_complex_numIdEiiPS3_EEvT0_S5_T2_lS5_S5_lPS5_llPT_S7_PT1_S5_S7_l.num_named_barrier, 0
	.set _ZN9rocsolver6v33100L23getf2_check_singularityI19rocblas_complex_numIdEiiPS3_EEvT0_S5_T2_lS5_S5_lPS5_llPT_S7_PT1_S5_S7_l.private_seg_size, 0
	.set _ZN9rocsolver6v33100L23getf2_check_singularityI19rocblas_complex_numIdEiiPS3_EEvT0_S5_T2_lS5_S5_lPS5_llPT_S7_PT1_S5_S7_l.uses_vcc, 1
	.set _ZN9rocsolver6v33100L23getf2_check_singularityI19rocblas_complex_numIdEiiPS3_EEvT0_S5_T2_lS5_S5_lPS5_llPT_S7_PT1_S5_S7_l.uses_flat_scratch, 0
	.set _ZN9rocsolver6v33100L23getf2_check_singularityI19rocblas_complex_numIdEiiPS3_EEvT0_S5_T2_lS5_S5_lPS5_llPT_S7_PT1_S5_S7_l.has_dyn_sized_stack, 0
	.set _ZN9rocsolver6v33100L23getf2_check_singularityI19rocblas_complex_numIdEiiPS3_EEvT0_S5_T2_lS5_S5_lPS5_llPT_S7_PT1_S5_S7_l.has_recursion, 0
	.set _ZN9rocsolver6v33100L23getf2_check_singularityI19rocblas_complex_numIdEiiPS3_EEvT0_S5_T2_lS5_S5_lPS5_llPT_S7_PT1_S5_S7_l.has_indirect_call, 0
	.section	.AMDGPU.csdata,"",@progbits
; Kernel info:
; codeLenInByte = 1200
; TotalNumSgprs: 38
; NumVgprs: 16
; ScratchSize: 0
; MemoryBound: 0
; FloatMode: 240
; IeeeMode: 1
; LDSByteSize: 16384 bytes/workgroup (compile time only)
; SGPRBlocks: 4
; VGPRBlocks: 3
; NumSGPRsForWavesPerEU: 38
; NumVGPRsForWavesPerEU: 16
; Occupancy: 8
; WaveLimiterHint : 1
; COMPUTE_PGM_RSRC2:SCRATCH_EN: 0
; COMPUTE_PGM_RSRC2:USER_SGPR: 8
; COMPUTE_PGM_RSRC2:TRAP_HANDLER: 0
; COMPUTE_PGM_RSRC2:TGID_X_EN: 1
; COMPUTE_PGM_RSRC2:TGID_Y_EN: 1
; COMPUTE_PGM_RSRC2:TGID_Z_EN: 0
; COMPUTE_PGM_RSRC2:TIDIG_COMP_CNT: 2
	.section	.text._ZN9rocsolver6v33100L28getf2_npvt_check_singularityI19rocblas_complex_numIdEiiPS3_EEvT0_T2_lS5_S5_lPT_PT1_S5_,"axG",@progbits,_ZN9rocsolver6v33100L28getf2_npvt_check_singularityI19rocblas_complex_numIdEiiPS3_EEvT0_T2_lS5_S5_lPT_PT1_S5_,comdat
	.globl	_ZN9rocsolver6v33100L28getf2_npvt_check_singularityI19rocblas_complex_numIdEiiPS3_EEvT0_T2_lS5_S5_lPT_PT1_S5_ ; -- Begin function _ZN9rocsolver6v33100L28getf2_npvt_check_singularityI19rocblas_complex_numIdEiiPS3_EEvT0_T2_lS5_S5_lPT_PT1_S5_
	.p2align	8
	.type	_ZN9rocsolver6v33100L28getf2_npvt_check_singularityI19rocblas_complex_numIdEiiPS3_EEvT0_T2_lS5_S5_lPT_PT1_S5_,@function
_ZN9rocsolver6v33100L28getf2_npvt_check_singularityI19rocblas_complex_numIdEiiPS3_EEvT0_T2_lS5_S5_lPT_PT1_S5_: ; @_ZN9rocsolver6v33100L28getf2_npvt_check_singularityI19rocblas_complex_numIdEiiPS3_EEvT0_T2_lS5_S5_lPT_PT1_S5_
; %bb.0:
	s_load_dwordx4 s[0:3], s[4:5], 0x20
	s_load_dwordx2 s[14:15], s[4:5], 0x18
	s_load_dword s12, s[4:5], 0x0
	s_load_dwordx4 s[8:11], s[4:5], 0x8
	s_mov_b32 s6, s7
	s_ashr_i32 s7, s7, 31
	s_waitcnt lgkmcnt(0)
	s_mul_hi_u32 s13, s0, s6
	s_mul_i32 s16, s0, s7
	s_add_i32 s13, s13, s16
	s_mul_i32 s1, s1, s6
	s_add_i32 s1, s13, s1
	s_mul_i32 s0, s0, s6
	s_lshl_b64 s[0:1], s[0:1], 4
	s_add_u32 s8, s8, s0
	s_addc_u32 s9, s9, s1
	s_lshl_b64 s[0:1], s[10:11], 4
	s_add_u32 s8, s8, s0
	s_addc_u32 s9, s9, s1
	s_add_i32 s0, s15, s14
	s_mul_i32 s0, s0, s12
	s_ashr_i32 s1, s0, 31
	s_lshl_b64 s[0:1], s[0:1], 4
	s_add_u32 s0, s8, s0
	s_addc_u32 s1, s9, s1
	s_load_dwordx4 s[8:11], s[0:1], 0x0
	s_waitcnt lgkmcnt(0)
	v_cmp_eq_f64_e64 s[0:1], s[8:9], 0
	v_cmp_eq_f64_e64 s[14:15], s[10:11], 0
	s_and_b64 s[0:1], s[0:1], s[14:15]
	s_andn2_b64 vcc, exec, s[0:1]
	s_mov_b64 s[0:1], -1
	s_cbranch_vccz .LBB29_6
; %bb.1:
	v_mov_b32_e32 v0, s10
	v_mov_b32_e32 v1, s11
	v_cmp_ngt_f64_e64 s[0:1], |s[8:9]|, |v[0:1]|
	s_and_b64 vcc, exec, s[0:1]
	s_cbranch_vccz .LBB29_3
; %bb.2:
	v_mov_b32_e32 v0, s8
	v_mov_b32_e32 v1, s9
	v_div_scale_f64 v[2:3], s[0:1], s[10:11], s[10:11], v[0:1]
	v_rcp_f64_e32 v[4:5], v[2:3]
	v_fma_f64 v[6:7], -v[2:3], v[4:5], 1.0
	v_fma_f64 v[4:5], v[4:5], v[6:7], v[4:5]
	v_mov_b32_e32 v6, s10
	v_mov_b32_e32 v7, s11
	v_div_scale_f64 v[8:9], vcc, s[8:9], v[6:7], s[8:9]
	v_fma_f64 v[10:11], -v[2:3], v[4:5], 1.0
	v_fma_f64 v[4:5], v[4:5], v[10:11], v[4:5]
	v_mul_f64 v[10:11], v[8:9], v[4:5]
	v_fma_f64 v[2:3], -v[2:3], v[10:11], v[8:9]
	v_div_fmas_f64 v[2:3], v[2:3], v[4:5], v[10:11]
	v_div_fixup_f64 v[0:1], v[2:3], s[10:11], v[0:1]
	v_fma_f64 v[2:3], s[8:9], v[0:1], v[6:7]
	v_div_scale_f64 v[4:5], s[0:1], v[2:3], v[2:3], 1.0
	v_div_scale_f64 v[10:11], vcc, 1.0, v[2:3], 1.0
	v_rcp_f64_e32 v[6:7], v[4:5]
	v_fma_f64 v[8:9], -v[4:5], v[6:7], 1.0
	v_fma_f64 v[6:7], v[6:7], v[8:9], v[6:7]
	v_fma_f64 v[8:9], -v[4:5], v[6:7], 1.0
	v_fma_f64 v[6:7], v[6:7], v[8:9], v[6:7]
	v_mul_f64 v[8:9], v[10:11], v[6:7]
	v_fma_f64 v[4:5], -v[4:5], v[8:9], v[10:11]
	v_div_fmas_f64 v[4:5], v[4:5], v[6:7], v[8:9]
	v_div_fixup_f64 v[2:3], v[4:5], v[2:3], 1.0
	v_mul_f64 v[0:1], v[0:1], v[2:3]
	v_xor_b32_e32 v3, 0x80000000, v3
	s_cbranch_execz .LBB29_4
	s_branch .LBB29_5
.LBB29_3:
                                        ; implicit-def: $vgpr0_vgpr1
.LBB29_4:
	v_mov_b32_e32 v0, s10
	v_mov_b32_e32 v1, s11
	v_div_scale_f64 v[2:3], s[0:1], s[8:9], s[8:9], v[0:1]
	v_rcp_f64_e32 v[4:5], v[2:3]
	v_fma_f64 v[6:7], -v[2:3], v[4:5], 1.0
	v_fma_f64 v[4:5], v[4:5], v[6:7], v[4:5]
	v_mov_b32_e32 v6, s8
	v_mov_b32_e32 v7, s9
	v_div_scale_f64 v[8:9], vcc, s[10:11], v[6:7], s[10:11]
	v_fma_f64 v[10:11], -v[2:3], v[4:5], 1.0
	v_fma_f64 v[4:5], v[4:5], v[10:11], v[4:5]
	v_mul_f64 v[10:11], v[8:9], v[4:5]
	v_fma_f64 v[2:3], -v[2:3], v[10:11], v[8:9]
	v_div_fmas_f64 v[2:3], v[2:3], v[4:5], v[10:11]
	v_div_fixup_f64 v[2:3], v[2:3], s[8:9], v[0:1]
	v_fma_f64 v[0:1], s[10:11], v[2:3], v[6:7]
	v_div_scale_f64 v[4:5], s[0:1], v[0:1], v[0:1], 1.0
	v_div_scale_f64 v[10:11], vcc, 1.0, v[0:1], 1.0
	v_rcp_f64_e32 v[6:7], v[4:5]
	v_fma_f64 v[8:9], -v[4:5], v[6:7], 1.0
	v_fma_f64 v[6:7], v[6:7], v[8:9], v[6:7]
	v_fma_f64 v[8:9], -v[4:5], v[6:7], 1.0
	v_fma_f64 v[6:7], v[6:7], v[8:9], v[6:7]
	v_mul_f64 v[8:9], v[10:11], v[6:7]
	v_fma_f64 v[4:5], -v[4:5], v[8:9], v[10:11]
	v_div_fmas_f64 v[4:5], v[4:5], v[6:7], v[8:9]
	v_div_fixup_f64 v[0:1], v[4:5], v[0:1], 1.0
	v_mul_f64 v[2:3], v[2:3], -v[0:1]
.LBB29_5:
	s_lshl_b64 s[0:1], s[6:7], 4
	s_add_u32 s0, s2, s0
	s_addc_u32 s1, s3, s1
	v_mov_b32_e32 v4, 0
	global_store_dwordx4 v4, v[0:3], s[0:1]
	s_mov_b64 s[0:1], 0
.LBB29_6:
	s_and_b64 vcc, exec, s[0:1]
	s_cbranch_vccz .LBB29_8
; %bb.7:
	s_load_dwordx2 s[0:1], s[4:5], 0x30
	s_lshl_b64 s[8:9], s[6:7], 4
	s_add_u32 s2, s2, s8
	s_addc_u32 s3, s3, s9
	s_lshl_b64 s[6:7], s[6:7], 2
	s_waitcnt lgkmcnt(0)
	s_add_u32 s0, s0, s6
	s_addc_u32 s1, s1, s7
	s_load_dword s6, s[0:1], 0x0
	v_mov_b32_e32 v0, 0
	v_mov_b32_e32 v1, 0x3ff00000
	;; [unrolled: 1-line block ×4, first 2 shown]
	s_waitcnt lgkmcnt(0)
	s_cmp_lg_u32 s6, 0
	global_store_dwordx4 v0, v[0:3], s[2:3]
	s_cbranch_scc0 .LBB29_9
.LBB29_8:
	s_endpgm
.LBB29_9:
	s_load_dword s2, s[4:5], 0x38
	s_waitcnt lgkmcnt(0)
	s_add_i32 s2, s12, s2
	s_add_i32 s2, s2, 1
	v_mov_b32_e32 v1, s2
	global_store_dword v0, v1, s[0:1]
	s_endpgm
	.section	.rodata,"a",@progbits
	.p2align	6, 0x0
	.amdhsa_kernel _ZN9rocsolver6v33100L28getf2_npvt_check_singularityI19rocblas_complex_numIdEiiPS3_EEvT0_T2_lS5_S5_lPT_PT1_S5_
		.amdhsa_group_segment_fixed_size 0
		.amdhsa_private_segment_fixed_size 0
		.amdhsa_kernarg_size 60
		.amdhsa_user_sgpr_count 6
		.amdhsa_user_sgpr_private_segment_buffer 1
		.amdhsa_user_sgpr_dispatch_ptr 0
		.amdhsa_user_sgpr_queue_ptr 0
		.amdhsa_user_sgpr_kernarg_segment_ptr 1
		.amdhsa_user_sgpr_dispatch_id 0
		.amdhsa_user_sgpr_flat_scratch_init 0
		.amdhsa_user_sgpr_private_segment_size 0
		.amdhsa_uses_dynamic_stack 0
		.amdhsa_system_sgpr_private_segment_wavefront_offset 0
		.amdhsa_system_sgpr_workgroup_id_x 1
		.amdhsa_system_sgpr_workgroup_id_y 1
		.amdhsa_system_sgpr_workgroup_id_z 0
		.amdhsa_system_sgpr_workgroup_info 0
		.amdhsa_system_vgpr_workitem_id 0
		.amdhsa_next_free_vgpr 12
		.amdhsa_next_free_sgpr 17
		.amdhsa_reserve_vcc 1
		.amdhsa_reserve_flat_scratch 0
		.amdhsa_float_round_mode_32 0
		.amdhsa_float_round_mode_16_64 0
		.amdhsa_float_denorm_mode_32 3
		.amdhsa_float_denorm_mode_16_64 3
		.amdhsa_dx10_clamp 1
		.amdhsa_ieee_mode 1
		.amdhsa_fp16_overflow 0
		.amdhsa_exception_fp_ieee_invalid_op 0
		.amdhsa_exception_fp_denorm_src 0
		.amdhsa_exception_fp_ieee_div_zero 0
		.amdhsa_exception_fp_ieee_overflow 0
		.amdhsa_exception_fp_ieee_underflow 0
		.amdhsa_exception_fp_ieee_inexact 0
		.amdhsa_exception_int_div_zero 0
	.end_amdhsa_kernel
	.section	.text._ZN9rocsolver6v33100L28getf2_npvt_check_singularityI19rocblas_complex_numIdEiiPS3_EEvT0_T2_lS5_S5_lPT_PT1_S5_,"axG",@progbits,_ZN9rocsolver6v33100L28getf2_npvt_check_singularityI19rocblas_complex_numIdEiiPS3_EEvT0_T2_lS5_S5_lPT_PT1_S5_,comdat
.Lfunc_end29:
	.size	_ZN9rocsolver6v33100L28getf2_npvt_check_singularityI19rocblas_complex_numIdEiiPS3_EEvT0_T2_lS5_S5_lPT_PT1_S5_, .Lfunc_end29-_ZN9rocsolver6v33100L28getf2_npvt_check_singularityI19rocblas_complex_numIdEiiPS3_EEvT0_T2_lS5_S5_lPT_PT1_S5_
                                        ; -- End function
	.set _ZN9rocsolver6v33100L28getf2_npvt_check_singularityI19rocblas_complex_numIdEiiPS3_EEvT0_T2_lS5_S5_lPT_PT1_S5_.num_vgpr, 12
	.set _ZN9rocsolver6v33100L28getf2_npvt_check_singularityI19rocblas_complex_numIdEiiPS3_EEvT0_T2_lS5_S5_lPT_PT1_S5_.num_agpr, 0
	.set _ZN9rocsolver6v33100L28getf2_npvt_check_singularityI19rocblas_complex_numIdEiiPS3_EEvT0_T2_lS5_S5_lPT_PT1_S5_.numbered_sgpr, 17
	.set _ZN9rocsolver6v33100L28getf2_npvt_check_singularityI19rocblas_complex_numIdEiiPS3_EEvT0_T2_lS5_S5_lPT_PT1_S5_.num_named_barrier, 0
	.set _ZN9rocsolver6v33100L28getf2_npvt_check_singularityI19rocblas_complex_numIdEiiPS3_EEvT0_T2_lS5_S5_lPT_PT1_S5_.private_seg_size, 0
	.set _ZN9rocsolver6v33100L28getf2_npvt_check_singularityI19rocblas_complex_numIdEiiPS3_EEvT0_T2_lS5_S5_lPT_PT1_S5_.uses_vcc, 1
	.set _ZN9rocsolver6v33100L28getf2_npvt_check_singularityI19rocblas_complex_numIdEiiPS3_EEvT0_T2_lS5_S5_lPT_PT1_S5_.uses_flat_scratch, 0
	.set _ZN9rocsolver6v33100L28getf2_npvt_check_singularityI19rocblas_complex_numIdEiiPS3_EEvT0_T2_lS5_S5_lPT_PT1_S5_.has_dyn_sized_stack, 0
	.set _ZN9rocsolver6v33100L28getf2_npvt_check_singularityI19rocblas_complex_numIdEiiPS3_EEvT0_T2_lS5_S5_lPT_PT1_S5_.has_recursion, 0
	.set _ZN9rocsolver6v33100L28getf2_npvt_check_singularityI19rocblas_complex_numIdEiiPS3_EEvT0_T2_lS5_S5_lPT_PT1_S5_.has_indirect_call, 0
	.section	.AMDGPU.csdata,"",@progbits
; Kernel info:
; codeLenInByte = 760
; TotalNumSgprs: 21
; NumVgprs: 12
; ScratchSize: 0
; MemoryBound: 0
; FloatMode: 240
; IeeeMode: 1
; LDSByteSize: 0 bytes/workgroup (compile time only)
; SGPRBlocks: 2
; VGPRBlocks: 2
; NumSGPRsForWavesPerEU: 21
; NumVGPRsForWavesPerEU: 12
; Occupancy: 10
; WaveLimiterHint : 0
; COMPUTE_PGM_RSRC2:SCRATCH_EN: 0
; COMPUTE_PGM_RSRC2:USER_SGPR: 6
; COMPUTE_PGM_RSRC2:TRAP_HANDLER: 0
; COMPUTE_PGM_RSRC2:TGID_X_EN: 1
; COMPUTE_PGM_RSRC2:TGID_Y_EN: 1
; COMPUTE_PGM_RSRC2:TGID_Z_EN: 0
; COMPUTE_PGM_RSRC2:TIDIG_COMP_CNT: 0
	.section	.text._ZN9rocsolver6v33100L19getrf_row_permutateI19rocblas_complex_numIdEiPS3_EEvT0_S5_S5_T1_lS5_S5_lPS5_l,"axG",@progbits,_ZN9rocsolver6v33100L19getrf_row_permutateI19rocblas_complex_numIdEiPS3_EEvT0_S5_S5_T1_lS5_S5_lPS5_l,comdat
	.globl	_ZN9rocsolver6v33100L19getrf_row_permutateI19rocblas_complex_numIdEiPS3_EEvT0_S5_S5_T1_lS5_S5_lPS5_l ; -- Begin function _ZN9rocsolver6v33100L19getrf_row_permutateI19rocblas_complex_numIdEiPS3_EEvT0_S5_S5_T1_lS5_S5_lPS5_l
	.p2align	8
	.type	_ZN9rocsolver6v33100L19getrf_row_permutateI19rocblas_complex_numIdEiPS3_EEvT0_S5_S5_T1_lS5_S5_lPS5_l,@function
_ZN9rocsolver6v33100L19getrf_row_permutateI19rocblas_complex_numIdEiPS3_EEvT0_S5_S5_T1_lS5_S5_lPS5_l: ; @_ZN9rocsolver6v33100L19getrf_row_permutateI19rocblas_complex_numIdEiPS3_EEvT0_S5_S5_T1_lS5_S5_lPS5_l
; %bb.0:
	s_load_dword s2, s[4:5], 0x4c
	s_load_dwordx4 s[12:15], s[4:5], 0x0
	s_add_u32 s0, s4, 64
	s_addc_u32 s1, s5, 0
	s_waitcnt lgkmcnt(0)
	s_lshr_b32 s2, s2, 16
	s_mul_i32 s7, s7, s2
	v_add_u32_e32 v2, s7, v1
	v_mov_b32_e32 v3, s14
	v_cmp_le_i32_e32 vcc, s13, v2
	v_cndmask_b32_e32 v3, 0, v3, vcc
	v_add_u32_e32 v2, v3, v2
	v_cmp_gt_i32_e32 vcc, s12, v2
	s_and_saveexec_b64 s[2:3], vcc
	s_cbranch_execz .LBB30_2
; %bb.1:
	s_load_dword s9, s[0:1], 0xc
	s_load_dwordx4 s[12:15], s[4:5], 0x28
	s_load_dwordx4 s[16:19], s[4:5], 0x10
	s_load_dwordx2 s[2:3], s[4:5], 0x20
	s_load_dwordx2 s[6:7], s[4:5], 0x38
	s_ashr_i32 s5, s8, 31
	s_waitcnt lgkmcnt(0)
	s_mul_hi_u32 s0, s12, s8
	s_mul_i32 s1, s12, s5
	s_add_i32 s0, s0, s1
	s_mul_i32 s1, s13, s8
	s_add_i32 s1, s0, s1
	s_mul_i32 s0, s12, s8
	s_and_b32 s4, s9, 0xffff
	s_lshl_b64 s[0:1], s[0:1], 4
	s_add_u32 s9, s16, s0
	s_addc_u32 s10, s17, s1
	s_lshl_b64 s[0:1], s[18:19], 4
	s_add_u32 s9, s9, s0
	s_addc_u32 s10, s10, s1
	s_mul_hi_u32 s0, s6, s8
	s_mul_i32 s1, s6, s5
	s_add_i32 s0, s0, s1
	s_mul_i32 s1, s7, s8
	s_add_i32 s1, s0, s1
	s_mul_i32 s0, s6, s8
	s_lshl_b64 s[0:1], s[0:1], 2
	s_add_u32 s0, s14, s0
	s_addc_u32 s1, s15, s1
	v_lshlrev_b32_e32 v3, 2, v0
	global_load_dword v3, v3, s[0:1]
	v_mov_b32_e32 v6, s1
	v_mul_lo_u32 v10, v2, s3
	v_mov_b32_e32 v7, s10
	v_lshlrev_b32_e32 v15, 4, v0
	s_waitcnt vmcnt(0)
	v_ashrrev_i32_e32 v4, 31, v3
	v_lshlrev_b64 v[4:5], 2, v[3:4]
	v_add_co_u32_e32 v4, vcc, s0, v4
	v_addc_co_u32_e32 v5, vcc, v6, v5, vcc
	global_load_dword v4, v[4:5], off
	v_mad_u64_u32 v[2:3], s[0:1], v3, s2, v[10:11]
	v_mov_b32_e32 v6, s10
	v_ashrrev_i32_e32 v3, 31, v2
	v_lshlrev_b64 v[2:3], 4, v[2:3]
	s_waitcnt vmcnt(0)
	v_mad_u64_u32 v[4:5], s[0:1], v4, s2, v[10:11]
	v_add_co_u32_e32 v11, vcc, s9, v2
	v_ashrrev_i32_e32 v5, 31, v4
	v_addc_co_u32_e32 v12, vcc, v6, v3, vcc
	v_lshlrev_b64 v[2:3], 4, v[4:5]
	v_add_co_u32_e32 v13, vcc, s9, v2
	v_addc_co_u32_e32 v14, vcc, v7, v3, vcc
	global_load_dwordx4 v[2:5], v[11:12], off
	global_load_dwordx4 v[6:9], v[13:14], off
	v_mad_u64_u32 v[13:14], s[0:1], s2, v0, v[10:11]
	v_mul_u32_u24_e32 v0, s4, v1
	v_lshlrev_b32_e32 v0, 4, v0
	v_add3_u32 v0, 0, v15, v0
	v_ashrrev_i32_e32 v14, 31, v13
	v_lshlrev_b64 v[13:14], 4, v[13:14]
	v_mov_b32_e32 v10, s10
	s_waitcnt vmcnt(1)
	ds_write2_b64 v0, v[2:3], v[4:5] offset1:1
	s_waitcnt vmcnt(0)
	global_store_dwordx4 v[11:12], v[6:9], off
	s_waitcnt vmcnt(0) lgkmcnt(0)
	s_barrier
	ds_read2_b64 v[0:3], v0 offset1:1
	v_add_co_u32_e32 v4, vcc, s9, v13
	v_addc_co_u32_e32 v5, vcc, v10, v14, vcc
	s_waitcnt lgkmcnt(0)
	global_store_dwordx4 v[4:5], v[0:3], off
.LBB30_2:
	s_endpgm
	.section	.rodata,"a",@progbits
	.p2align	6, 0x0
	.amdhsa_kernel _ZN9rocsolver6v33100L19getrf_row_permutateI19rocblas_complex_numIdEiPS3_EEvT0_S5_S5_T1_lS5_S5_lPS5_l
		.amdhsa_group_segment_fixed_size 0
		.amdhsa_private_segment_fixed_size 0
		.amdhsa_kernarg_size 320
		.amdhsa_user_sgpr_count 6
		.amdhsa_user_sgpr_private_segment_buffer 1
		.amdhsa_user_sgpr_dispatch_ptr 0
		.amdhsa_user_sgpr_queue_ptr 0
		.amdhsa_user_sgpr_kernarg_segment_ptr 1
		.amdhsa_user_sgpr_dispatch_id 0
		.amdhsa_user_sgpr_flat_scratch_init 0
		.amdhsa_user_sgpr_private_segment_size 0
		.amdhsa_uses_dynamic_stack 0
		.amdhsa_system_sgpr_private_segment_wavefront_offset 0
		.amdhsa_system_sgpr_workgroup_id_x 1
		.amdhsa_system_sgpr_workgroup_id_y 1
		.amdhsa_system_sgpr_workgroup_id_z 1
		.amdhsa_system_sgpr_workgroup_info 0
		.amdhsa_system_vgpr_workitem_id 1
		.amdhsa_next_free_vgpr 16
		.amdhsa_next_free_sgpr 20
		.amdhsa_reserve_vcc 1
		.amdhsa_reserve_flat_scratch 0
		.amdhsa_float_round_mode_32 0
		.amdhsa_float_round_mode_16_64 0
		.amdhsa_float_denorm_mode_32 3
		.amdhsa_float_denorm_mode_16_64 3
		.amdhsa_dx10_clamp 1
		.amdhsa_ieee_mode 1
		.amdhsa_fp16_overflow 0
		.amdhsa_exception_fp_ieee_invalid_op 0
		.amdhsa_exception_fp_denorm_src 0
		.amdhsa_exception_fp_ieee_div_zero 0
		.amdhsa_exception_fp_ieee_overflow 0
		.amdhsa_exception_fp_ieee_underflow 0
		.amdhsa_exception_fp_ieee_inexact 0
		.amdhsa_exception_int_div_zero 0
	.end_amdhsa_kernel
	.section	.text._ZN9rocsolver6v33100L19getrf_row_permutateI19rocblas_complex_numIdEiPS3_EEvT0_S5_S5_T1_lS5_S5_lPS5_l,"axG",@progbits,_ZN9rocsolver6v33100L19getrf_row_permutateI19rocblas_complex_numIdEiPS3_EEvT0_S5_S5_T1_lS5_S5_lPS5_l,comdat
.Lfunc_end30:
	.size	_ZN9rocsolver6v33100L19getrf_row_permutateI19rocblas_complex_numIdEiPS3_EEvT0_S5_S5_T1_lS5_S5_lPS5_l, .Lfunc_end30-_ZN9rocsolver6v33100L19getrf_row_permutateI19rocblas_complex_numIdEiPS3_EEvT0_S5_S5_T1_lS5_S5_lPS5_l
                                        ; -- End function
	.set _ZN9rocsolver6v33100L19getrf_row_permutateI19rocblas_complex_numIdEiPS3_EEvT0_S5_S5_T1_lS5_S5_lPS5_l.num_vgpr, 16
	.set _ZN9rocsolver6v33100L19getrf_row_permutateI19rocblas_complex_numIdEiPS3_EEvT0_S5_S5_T1_lS5_S5_lPS5_l.num_agpr, 0
	.set _ZN9rocsolver6v33100L19getrf_row_permutateI19rocblas_complex_numIdEiPS3_EEvT0_S5_S5_T1_lS5_S5_lPS5_l.numbered_sgpr, 20
	.set _ZN9rocsolver6v33100L19getrf_row_permutateI19rocblas_complex_numIdEiPS3_EEvT0_S5_S5_T1_lS5_S5_lPS5_l.num_named_barrier, 0
	.set _ZN9rocsolver6v33100L19getrf_row_permutateI19rocblas_complex_numIdEiPS3_EEvT0_S5_S5_T1_lS5_S5_lPS5_l.private_seg_size, 0
	.set _ZN9rocsolver6v33100L19getrf_row_permutateI19rocblas_complex_numIdEiPS3_EEvT0_S5_S5_T1_lS5_S5_lPS5_l.uses_vcc, 1
	.set _ZN9rocsolver6v33100L19getrf_row_permutateI19rocblas_complex_numIdEiPS3_EEvT0_S5_S5_T1_lS5_S5_lPS5_l.uses_flat_scratch, 0
	.set _ZN9rocsolver6v33100L19getrf_row_permutateI19rocblas_complex_numIdEiPS3_EEvT0_S5_S5_T1_lS5_S5_lPS5_l.has_dyn_sized_stack, 0
	.set _ZN9rocsolver6v33100L19getrf_row_permutateI19rocblas_complex_numIdEiPS3_EEvT0_S5_S5_T1_lS5_S5_lPS5_l.has_recursion, 0
	.set _ZN9rocsolver6v33100L19getrf_row_permutateI19rocblas_complex_numIdEiPS3_EEvT0_S5_S5_T1_lS5_S5_lPS5_l.has_indirect_call, 0
	.section	.AMDGPU.csdata,"",@progbits
; Kernel info:
; codeLenInByte = 456
; TotalNumSgprs: 24
; NumVgprs: 16
; ScratchSize: 0
; MemoryBound: 0
; FloatMode: 240
; IeeeMode: 1
; LDSByteSize: 0 bytes/workgroup (compile time only)
; SGPRBlocks: 2
; VGPRBlocks: 3
; NumSGPRsForWavesPerEU: 24
; NumVGPRsForWavesPerEU: 16
; Occupancy: 10
; WaveLimiterHint : 1
; COMPUTE_PGM_RSRC2:SCRATCH_EN: 0
; COMPUTE_PGM_RSRC2:USER_SGPR: 6
; COMPUTE_PGM_RSRC2:TRAP_HANDLER: 0
; COMPUTE_PGM_RSRC2:TGID_X_EN: 1
; COMPUTE_PGM_RSRC2:TGID_Y_EN: 1
; COMPUTE_PGM_RSRC2:TGID_Z_EN: 1
; COMPUTE_PGM_RSRC2:TIDIG_COMP_CNT: 1
	.section	.text._ZN9rocsolver6v33100L8copy_matI19rocblas_complex_numIdEPS3_S4_NS0_7no_maskEEEviiT0_iilT1_iilT2_13rocblas_fill_17rocblas_diagonal_,"axG",@progbits,_ZN9rocsolver6v33100L8copy_matI19rocblas_complex_numIdEPS3_S4_NS0_7no_maskEEEviiT0_iilT1_iilT2_13rocblas_fill_17rocblas_diagonal_,comdat
	.globl	_ZN9rocsolver6v33100L8copy_matI19rocblas_complex_numIdEPS3_S4_NS0_7no_maskEEEviiT0_iilT1_iilT2_13rocblas_fill_17rocblas_diagonal_ ; -- Begin function _ZN9rocsolver6v33100L8copy_matI19rocblas_complex_numIdEPS3_S4_NS0_7no_maskEEEviiT0_iilT1_iilT2_13rocblas_fill_17rocblas_diagonal_
	.p2align	8
	.type	_ZN9rocsolver6v33100L8copy_matI19rocblas_complex_numIdEPS3_S4_NS0_7no_maskEEEviiT0_iilT1_iilT2_13rocblas_fill_17rocblas_diagonal_,@function
_ZN9rocsolver6v33100L8copy_matI19rocblas_complex_numIdEPS3_S4_NS0_7no_maskEEEviiT0_iilT1_iilT2_13rocblas_fill_17rocblas_diagonal_: ; @_ZN9rocsolver6v33100L8copy_matI19rocblas_complex_numIdEPS3_S4_NS0_7no_maskEEEviiT0_iilT1_iilT2_13rocblas_fill_17rocblas_diagonal_
; %bb.0:
	s_load_dword s2, s[4:5], 0x54
	s_load_dwordx2 s[0:1], s[4:5], 0x0
	s_waitcnt lgkmcnt(0)
	s_lshr_b32 s3, s2, 16
	s_and_b32 s2, s2, 0xffff
	s_mul_i32 s7, s7, s3
	s_mul_i32 s6, s6, s2
	v_add_u32_e32 v1, s7, v1
	v_add_u32_e32 v0, s6, v0
	v_cmp_gt_u32_e32 vcc, s0, v0
	v_cmp_gt_u32_e64 s[0:1], s1, v1
	s_and_b64 s[0:1], s[0:1], vcc
	s_and_saveexec_b64 s[2:3], s[0:1]
	s_cbranch_execz .LBB31_14
; %bb.1:
	s_load_dwordx2 s[2:3], s[4:5], 0x3c
	s_waitcnt lgkmcnt(0)
	s_cmpk_lt_i32 s2, 0x7a
	s_cbranch_scc1 .LBB31_4
; %bb.2:
	s_cmpk_gt_i32 s2, 0x7a
	s_cbranch_scc0 .LBB31_5
; %bb.3:
	s_cmpk_lg_i32 s2, 0x7b
	s_mov_b64 s[6:7], -1
	s_cselect_b64 s[10:11], -1, 0
	s_cbranch_execz .LBB31_6
	s_branch .LBB31_7
.LBB31_4:
	s_mov_b64 s[10:11], 0
	s_mov_b64 s[6:7], 0
	s_cbranch_execnz .LBB31_8
	s_branch .LBB31_10
.LBB31_5:
	s_mov_b64 s[6:7], 0
	s_mov_b64 s[10:11], 0
.LBB31_6:
	v_cmp_gt_u32_e32 vcc, v0, v1
	v_cmp_le_u32_e64 s[0:1], v0, v1
	s_andn2_b64 s[6:7], s[6:7], exec
	s_and_b64 s[12:13], vcc, exec
	s_andn2_b64 s[10:11], s[10:11], exec
	s_and_b64 s[0:1], s[0:1], exec
	s_or_b64 s[6:7], s[6:7], s[12:13]
	s_or_b64 s[10:11], s[10:11], s[0:1]
.LBB31_7:
	s_branch .LBB31_10
.LBB31_8:
	s_cmpk_eq_i32 s2, 0x79
	s_mov_b64 s[10:11], -1
	s_cbranch_scc0 .LBB31_10
; %bb.9:
	v_cmp_gt_u32_e32 vcc, v1, v0
	v_cmp_le_u32_e64 s[0:1], v1, v0
	s_andn2_b64 s[6:7], s[6:7], exec
	s_and_b64 s[10:11], vcc, exec
	s_or_b64 s[6:7], s[6:7], s[10:11]
	s_orn2_b64 s[10:11], s[0:1], exec
.LBB31_10:
	s_and_saveexec_b64 s[0:1], s[10:11]
; %bb.11:
	s_cmpk_eq_i32 s3, 0x83
	s_cselect_b64 s[2:3], -1, 0
	v_cmp_eq_u32_e32 vcc, v0, v1
	s_and_b64 s[2:3], s[2:3], vcc
	s_andn2_b64 s[6:7], s[6:7], exec
	s_and_b64 s[2:3], s[2:3], exec
	s_or_b64 s[6:7], s[6:7], s[2:3]
; %bb.12:
	s_or_b64 exec, exec, s[0:1]
	s_and_b64 exec, exec, s[6:7]
	s_cbranch_execz .LBB31_14
; %bb.13:
	s_load_dwordx8 s[12:19], s[4:5], 0x8
	s_waitcnt lgkmcnt(0)
	s_mul_i32 s3, s17, s8
	s_mul_hi_u32 s6, s16, s8
	s_mul_i32 s2, s16, s8
	s_add_i32 s3, s6, s3
	s_ashr_i32 s1, s14, 31
	s_lshl_b64 s[2:3], s[2:3], 4
	s_add_u32 s6, s12, s2
	s_addc_u32 s7, s13, s3
	v_mad_u64_u32 v[5:6], s[2:3], v1, s15, v[0:1]
	s_mov_b32 s0, s14
	s_lshl_b64 s[0:1], s[0:1], 4
	v_mov_b32_e32 v6, 0
	s_add_u32 s0, s6, s0
	v_lshlrev_b64 v[2:3], 4, v[5:6]
	s_addc_u32 s1, s7, s1
	v_mov_b32_e32 v4, s1
	v_add_co_u32_e32 v2, vcc, s0, v2
	v_addc_co_u32_e32 v3, vcc, v4, v3, vcc
	global_load_dwordx4 v[2:5], v[2:3], off
	s_load_dwordx4 s[0:3], s[4:5], 0x28
	s_waitcnt lgkmcnt(0)
	s_ashr_i32 s5, s0, 31
	s_mov_b32 s4, s0
	s_mul_i32 s0, s3, s8
	s_mul_hi_u32 s3, s2, s8
	s_add_i32 s3, s3, s0
	s_mul_i32 s2, s2, s8
	v_mad_u64_u32 v[0:1], s[0:1], v1, s1, v[0:1]
	s_lshl_b64 s[2:3], s[2:3], 4
	s_add_u32 s6, s18, s2
	s_addc_u32 s7, s19, s3
	s_lshl_b64 s[2:3], s[4:5], 4
	v_mov_b32_e32 v1, v6
	s_add_u32 s0, s6, s2
	v_lshlrev_b64 v[0:1], 4, v[0:1]
	s_addc_u32 s1, s7, s3
	v_mov_b32_e32 v6, s1
	v_add_co_u32_e32 v0, vcc, s0, v0
	v_addc_co_u32_e32 v1, vcc, v6, v1, vcc
	s_waitcnt vmcnt(0)
	global_store_dwordx4 v[0:1], v[2:5], off
.LBB31_14:
	s_endpgm
	.section	.rodata,"a",@progbits
	.p2align	6, 0x0
	.amdhsa_kernel _ZN9rocsolver6v33100L8copy_matI19rocblas_complex_numIdEPS3_S4_NS0_7no_maskEEEviiT0_iilT1_iilT2_13rocblas_fill_17rocblas_diagonal_
		.amdhsa_group_segment_fixed_size 0
		.amdhsa_private_segment_fixed_size 0
		.amdhsa_kernarg_size 328
		.amdhsa_user_sgpr_count 6
		.amdhsa_user_sgpr_private_segment_buffer 1
		.amdhsa_user_sgpr_dispatch_ptr 0
		.amdhsa_user_sgpr_queue_ptr 0
		.amdhsa_user_sgpr_kernarg_segment_ptr 1
		.amdhsa_user_sgpr_dispatch_id 0
		.amdhsa_user_sgpr_flat_scratch_init 0
		.amdhsa_user_sgpr_private_segment_size 0
		.amdhsa_uses_dynamic_stack 0
		.amdhsa_system_sgpr_private_segment_wavefront_offset 0
		.amdhsa_system_sgpr_workgroup_id_x 1
		.amdhsa_system_sgpr_workgroup_id_y 1
		.amdhsa_system_sgpr_workgroup_id_z 1
		.amdhsa_system_sgpr_workgroup_info 0
		.amdhsa_system_vgpr_workitem_id 1
		.amdhsa_next_free_vgpr 7
		.amdhsa_next_free_sgpr 20
		.amdhsa_reserve_vcc 1
		.amdhsa_reserve_flat_scratch 0
		.amdhsa_float_round_mode_32 0
		.amdhsa_float_round_mode_16_64 0
		.amdhsa_float_denorm_mode_32 3
		.amdhsa_float_denorm_mode_16_64 3
		.amdhsa_dx10_clamp 1
		.amdhsa_ieee_mode 1
		.amdhsa_fp16_overflow 0
		.amdhsa_exception_fp_ieee_invalid_op 0
		.amdhsa_exception_fp_denorm_src 0
		.amdhsa_exception_fp_ieee_div_zero 0
		.amdhsa_exception_fp_ieee_overflow 0
		.amdhsa_exception_fp_ieee_underflow 0
		.amdhsa_exception_fp_ieee_inexact 0
		.amdhsa_exception_int_div_zero 0
	.end_amdhsa_kernel
	.section	.text._ZN9rocsolver6v33100L8copy_matI19rocblas_complex_numIdEPS3_S4_NS0_7no_maskEEEviiT0_iilT1_iilT2_13rocblas_fill_17rocblas_diagonal_,"axG",@progbits,_ZN9rocsolver6v33100L8copy_matI19rocblas_complex_numIdEPS3_S4_NS0_7no_maskEEEviiT0_iilT1_iilT2_13rocblas_fill_17rocblas_diagonal_,comdat
.Lfunc_end31:
	.size	_ZN9rocsolver6v33100L8copy_matI19rocblas_complex_numIdEPS3_S4_NS0_7no_maskEEEviiT0_iilT1_iilT2_13rocblas_fill_17rocblas_diagonal_, .Lfunc_end31-_ZN9rocsolver6v33100L8copy_matI19rocblas_complex_numIdEPS3_S4_NS0_7no_maskEEEviiT0_iilT1_iilT2_13rocblas_fill_17rocblas_diagonal_
                                        ; -- End function
	.set _ZN9rocsolver6v33100L8copy_matI19rocblas_complex_numIdEPS3_S4_NS0_7no_maskEEEviiT0_iilT1_iilT2_13rocblas_fill_17rocblas_diagonal_.num_vgpr, 7
	.set _ZN9rocsolver6v33100L8copy_matI19rocblas_complex_numIdEPS3_S4_NS0_7no_maskEEEviiT0_iilT1_iilT2_13rocblas_fill_17rocblas_diagonal_.num_agpr, 0
	.set _ZN9rocsolver6v33100L8copy_matI19rocblas_complex_numIdEPS3_S4_NS0_7no_maskEEEviiT0_iilT1_iilT2_13rocblas_fill_17rocblas_diagonal_.numbered_sgpr, 20
	.set _ZN9rocsolver6v33100L8copy_matI19rocblas_complex_numIdEPS3_S4_NS0_7no_maskEEEviiT0_iilT1_iilT2_13rocblas_fill_17rocblas_diagonal_.num_named_barrier, 0
	.set _ZN9rocsolver6v33100L8copy_matI19rocblas_complex_numIdEPS3_S4_NS0_7no_maskEEEviiT0_iilT1_iilT2_13rocblas_fill_17rocblas_diagonal_.private_seg_size, 0
	.set _ZN9rocsolver6v33100L8copy_matI19rocblas_complex_numIdEPS3_S4_NS0_7no_maskEEEviiT0_iilT1_iilT2_13rocblas_fill_17rocblas_diagonal_.uses_vcc, 1
	.set _ZN9rocsolver6v33100L8copy_matI19rocblas_complex_numIdEPS3_S4_NS0_7no_maskEEEviiT0_iilT1_iilT2_13rocblas_fill_17rocblas_diagonal_.uses_flat_scratch, 0
	.set _ZN9rocsolver6v33100L8copy_matI19rocblas_complex_numIdEPS3_S4_NS0_7no_maskEEEviiT0_iilT1_iilT2_13rocblas_fill_17rocblas_diagonal_.has_dyn_sized_stack, 0
	.set _ZN9rocsolver6v33100L8copy_matI19rocblas_complex_numIdEPS3_S4_NS0_7no_maskEEEviiT0_iilT1_iilT2_13rocblas_fill_17rocblas_diagonal_.has_recursion, 0
	.set _ZN9rocsolver6v33100L8copy_matI19rocblas_complex_numIdEPS3_S4_NS0_7no_maskEEEviiT0_iilT1_iilT2_13rocblas_fill_17rocblas_diagonal_.has_indirect_call, 0
	.section	.AMDGPU.csdata,"",@progbits
; Kernel info:
; codeLenInByte = 476
; TotalNumSgprs: 24
; NumVgprs: 7
; ScratchSize: 0
; MemoryBound: 0
; FloatMode: 240
; IeeeMode: 1
; LDSByteSize: 0 bytes/workgroup (compile time only)
; SGPRBlocks: 2
; VGPRBlocks: 1
; NumSGPRsForWavesPerEU: 24
; NumVGPRsForWavesPerEU: 7
; Occupancy: 10
; WaveLimiterHint : 0
; COMPUTE_PGM_RSRC2:SCRATCH_EN: 0
; COMPUTE_PGM_RSRC2:USER_SGPR: 6
; COMPUTE_PGM_RSRC2:TRAP_HANDLER: 0
; COMPUTE_PGM_RSRC2:TGID_X_EN: 1
; COMPUTE_PGM_RSRC2:TGID_Y_EN: 1
; COMPUTE_PGM_RSRC2:TGID_Z_EN: 1
; COMPUTE_PGM_RSRC2:TIDIG_COMP_CNT: 1
	.section	.text._ZN9rocsolver6v33100L12laswp_kernelI19rocblas_complex_numIdEiPS3_EEvT0_T1_lS5_S5_lS5_S5_PKS5_lS5_l,"axG",@progbits,_ZN9rocsolver6v33100L12laswp_kernelI19rocblas_complex_numIdEiPS3_EEvT0_T1_lS5_S5_lS5_S5_PKS5_lS5_l,comdat
	.globl	_ZN9rocsolver6v33100L12laswp_kernelI19rocblas_complex_numIdEiPS3_EEvT0_T1_lS5_S5_lS5_S5_PKS5_lS5_l ; -- Begin function _ZN9rocsolver6v33100L12laswp_kernelI19rocblas_complex_numIdEiPS3_EEvT0_T1_lS5_S5_lS5_S5_PKS5_lS5_l
	.p2align	8
	.type	_ZN9rocsolver6v33100L12laswp_kernelI19rocblas_complex_numIdEiPS3_EEvT0_T1_lS5_S5_lS5_S5_PKS5_lS5_l,@function
_ZN9rocsolver6v33100L12laswp_kernelI19rocblas_complex_numIdEiPS3_EEvT0_T1_lS5_S5_lS5_S5_PKS5_lS5_l: ; @_ZN9rocsolver6v33100L12laswp_kernelI19rocblas_complex_numIdEiPS3_EEvT0_T1_lS5_S5_lS5_S5_PKS5_lS5_l
; %bb.0:
	s_load_dword s0, s[6:7], 0x5c
	s_load_dword s1, s[6:7], 0x0
	s_waitcnt lgkmcnt(0)
	s_and_b32 s0, s0, 0xffff
	s_mul_i32 s8, s8, s0
	v_add_u32_e32 v3, s8, v0
	v_cmp_gt_i32_e32 vcc, s1, v3
	s_and_saveexec_b64 s[0:1], vcc
	s_cbranch_execz .LBB32_10
; %bb.1:
	s_load_dword s11, s[6:7], 0x40
	s_load_dwordx2 s[0:1], s[6:7], 0x28
	s_waitcnt lgkmcnt(0)
	s_cmp_gt_i32 s11, -1
	s_cbranch_scc0 .LBB32_3
; %bb.2:
	s_add_i32 s8, s1, 1
	s_mov_b32 s10, 1
	s_mov_b32 s2, s0
	s_cbranch_execz .LBB32_4
	s_branch .LBB32_5
.LBB32_3:
                                        ; implicit-def: $sgpr8
	s_mov_b32 s10, 1
	s_mov_b32 s2, s0
.LBB32_4:
	s_mov_b32 s10, -1
	s_add_i32 s8, s0, -1
	s_sub_i32 s11, 0, s11
	s_mov_b32 s2, s1
.LBB32_5:
	s_cmp_eq_u32 s2, s8
	s_cbranch_scc1 .LBB32_10
; %bb.6:
	s_load_dwordx2 s[24:25], s[6:7], 0x48
	s_load_dwordx4 s[20:23], s[6:7], 0x30
	s_load_dwordx8 s[12:19], s[6:7], 0x8
	s_ashr_i32 s1, s9, 31
	v_mov_b32_e32 v4, 0
	s_waitcnt lgkmcnt(0)
	s_mul_hi_u32 s3, s24, s9
	s_mul_i32 s6, s24, s1
	s_add_i32 s3, s3, s6
	s_mul_i32 s6, s25, s9
	s_add_i32 s7, s3, s6
	s_mul_i32 s6, s24, s9
	s_lshl_b64 s[6:7], s[6:7], 2
	s_add_u32 s3, s20, s6
	s_addc_u32 s20, s21, s7
	s_lshl_b64 s[6:7], s[22:23], 2
	s_add_u32 s3, s3, s6
	s_addc_u32 s6, s20, s7
	s_mul_hi_u32 s7, s18, s9
	s_mul_i32 s1, s18, s1
	s_add_i32 s1, s7, s1
	s_mul_i32 s7, s19, s9
	s_add_i32 s19, s1, s7
	s_mul_i32 s18, s18, s9
	s_load_dwordx2 s[20:21], s[4:5], 0x4
	s_lshl_b64 s[18:19], s[18:19], 4
	s_add_u32 s1, s12, s18
	s_addc_u32 s7, s13, s19
	s_lshl_b64 s[4:5], s[14:15], 4
	s_add_u32 s4, s1, s4
	s_addc_u32 s5, s7, s5
	s_waitcnt lgkmcnt(0)
	s_lshr_b32 s1, s20, 16
	s_mul_i32 s1, s1, s21
	v_mul_lo_u32 v0, s1, v0
	v_mul_lo_u32 v3, v3, s17
	s_add_i32 s1, s2, -1
	s_mul_i32 s1, s16, s1
	v_mad_u32_u24 v0, v1, s21, v0
	v_add_lshl_u32 v2, v0, v2, 4
	v_add_u32_e32 v0, s1, v3
	s_sub_i32 s1, s2, s0
	s_mul_i32 s1, s11, s1
	s_mul_i32 s7, s10, s16
	s_add_i32 s0, s0, s1
	s_mul_i32 s9, s11, s10
	s_branch .LBB32_8
.LBB32_7:                               ;   in Loop: Header=BB32_8 Depth=1
	s_add_i32 s2, s2, s10
	s_add_i32 s0, s0, s9
	s_cmp_lg_u32 s8, s2
	v_add_u32_e32 v0, s7, v0
	s_cbranch_scc0 .LBB32_10
.LBB32_8:                               ; =>This Inner Loop Header: Depth=1
	s_ashr_i32 s1, s0, 31
	s_lshl_b64 s[12:13], s[0:1], 2
	s_add_u32 s12, s3, s12
	s_addc_u32 s13, s6, s13
	global_load_dword v5, v4, s[12:13] offset:-4
	s_waitcnt vmcnt(0)
	v_cmp_eq_u32_e32 vcc, s2, v5
	s_cbranch_vccnz .LBB32_7
; %bb.9:                                ;   in Loop: Header=BB32_8 Depth=1
	v_add_u32_e32 v5, -1, v5
	v_mul_lo_u32 v5, v5, s16
	v_ashrrev_i32_e32 v1, 31, v0
	v_lshlrev_b64 v[6:7], 4, v[0:1]
	v_mov_b32_e32 v1, s5
	v_add_u32_e32 v5, v5, v3
	v_add_co_u32_e32 v13, vcc, s4, v6
	v_ashrrev_i32_e32 v6, 31, v5
	v_lshlrev_b64 v[5:6], 4, v[5:6]
	v_addc_co_u32_e32 v14, vcc, v1, v7, vcc
	v_add_co_u32_e32 v15, vcc, s4, v5
	v_addc_co_u32_e32 v16, vcc, v1, v6, vcc
	global_load_dwordx4 v[5:8], v[13:14], off
	global_load_dwordx4 v[9:12], v[15:16], off
	s_waitcnt vmcnt(1)
	ds_write2_b64 v2, v[5:6], v[7:8] offset1:1
	s_waitcnt vmcnt(0)
	global_store_dwordx4 v[13:14], v[9:12], off
	global_store_dwordx4 v[15:16], v[5:8], off
	s_branch .LBB32_7
.LBB32_10:
	s_endpgm
	.section	.rodata,"a",@progbits
	.p2align	6, 0x0
	.amdhsa_kernel _ZN9rocsolver6v33100L12laswp_kernelI19rocblas_complex_numIdEiPS3_EEvT0_T1_lS5_S5_lS5_S5_PKS5_lS5_l
		.amdhsa_group_segment_fixed_size 16384
		.amdhsa_private_segment_fixed_size 0
		.amdhsa_kernarg_size 336
		.amdhsa_user_sgpr_count 8
		.amdhsa_user_sgpr_private_segment_buffer 1
		.amdhsa_user_sgpr_dispatch_ptr 1
		.amdhsa_user_sgpr_queue_ptr 0
		.amdhsa_user_sgpr_kernarg_segment_ptr 1
		.amdhsa_user_sgpr_dispatch_id 0
		.amdhsa_user_sgpr_flat_scratch_init 0
		.amdhsa_user_sgpr_private_segment_size 0
		.amdhsa_uses_dynamic_stack 0
		.amdhsa_system_sgpr_private_segment_wavefront_offset 0
		.amdhsa_system_sgpr_workgroup_id_x 1
		.amdhsa_system_sgpr_workgroup_id_y 1
		.amdhsa_system_sgpr_workgroup_id_z 0
		.amdhsa_system_sgpr_workgroup_info 0
		.amdhsa_system_vgpr_workitem_id 2
		.amdhsa_next_free_vgpr 17
		.amdhsa_next_free_sgpr 26
		.amdhsa_reserve_vcc 1
		.amdhsa_reserve_flat_scratch 0
		.amdhsa_float_round_mode_32 0
		.amdhsa_float_round_mode_16_64 0
		.amdhsa_float_denorm_mode_32 3
		.amdhsa_float_denorm_mode_16_64 3
		.amdhsa_dx10_clamp 1
		.amdhsa_ieee_mode 1
		.amdhsa_fp16_overflow 0
		.amdhsa_exception_fp_ieee_invalid_op 0
		.amdhsa_exception_fp_denorm_src 0
		.amdhsa_exception_fp_ieee_div_zero 0
		.amdhsa_exception_fp_ieee_overflow 0
		.amdhsa_exception_fp_ieee_underflow 0
		.amdhsa_exception_fp_ieee_inexact 0
		.amdhsa_exception_int_div_zero 0
	.end_amdhsa_kernel
	.section	.text._ZN9rocsolver6v33100L12laswp_kernelI19rocblas_complex_numIdEiPS3_EEvT0_T1_lS5_S5_lS5_S5_PKS5_lS5_l,"axG",@progbits,_ZN9rocsolver6v33100L12laswp_kernelI19rocblas_complex_numIdEiPS3_EEvT0_T1_lS5_S5_lS5_S5_PKS5_lS5_l,comdat
.Lfunc_end32:
	.size	_ZN9rocsolver6v33100L12laswp_kernelI19rocblas_complex_numIdEiPS3_EEvT0_T1_lS5_S5_lS5_S5_PKS5_lS5_l, .Lfunc_end32-_ZN9rocsolver6v33100L12laswp_kernelI19rocblas_complex_numIdEiPS3_EEvT0_T1_lS5_S5_lS5_S5_PKS5_lS5_l
                                        ; -- End function
	.set _ZN9rocsolver6v33100L12laswp_kernelI19rocblas_complex_numIdEiPS3_EEvT0_T1_lS5_S5_lS5_S5_PKS5_lS5_l.num_vgpr, 17
	.set _ZN9rocsolver6v33100L12laswp_kernelI19rocblas_complex_numIdEiPS3_EEvT0_T1_lS5_S5_lS5_S5_PKS5_lS5_l.num_agpr, 0
	.set _ZN9rocsolver6v33100L12laswp_kernelI19rocblas_complex_numIdEiPS3_EEvT0_T1_lS5_S5_lS5_S5_PKS5_lS5_l.numbered_sgpr, 26
	.set _ZN9rocsolver6v33100L12laswp_kernelI19rocblas_complex_numIdEiPS3_EEvT0_T1_lS5_S5_lS5_S5_PKS5_lS5_l.num_named_barrier, 0
	.set _ZN9rocsolver6v33100L12laswp_kernelI19rocblas_complex_numIdEiPS3_EEvT0_T1_lS5_S5_lS5_S5_PKS5_lS5_l.private_seg_size, 0
	.set _ZN9rocsolver6v33100L12laswp_kernelI19rocblas_complex_numIdEiPS3_EEvT0_T1_lS5_S5_lS5_S5_PKS5_lS5_l.uses_vcc, 1
	.set _ZN9rocsolver6v33100L12laswp_kernelI19rocblas_complex_numIdEiPS3_EEvT0_T1_lS5_S5_lS5_S5_PKS5_lS5_l.uses_flat_scratch, 0
	.set _ZN9rocsolver6v33100L12laswp_kernelI19rocblas_complex_numIdEiPS3_EEvT0_T1_lS5_S5_lS5_S5_PKS5_lS5_l.has_dyn_sized_stack, 0
	.set _ZN9rocsolver6v33100L12laswp_kernelI19rocblas_complex_numIdEiPS3_EEvT0_T1_lS5_S5_lS5_S5_PKS5_lS5_l.has_recursion, 0
	.set _ZN9rocsolver6v33100L12laswp_kernelI19rocblas_complex_numIdEiPS3_EEvT0_T1_lS5_S5_lS5_S5_PKS5_lS5_l.has_indirect_call, 0
	.section	.AMDGPU.csdata,"",@progbits
; Kernel info:
; codeLenInByte = 520
; TotalNumSgprs: 30
; NumVgprs: 17
; ScratchSize: 0
; MemoryBound: 0
; FloatMode: 240
; IeeeMode: 1
; LDSByteSize: 16384 bytes/workgroup (compile time only)
; SGPRBlocks: 3
; VGPRBlocks: 4
; NumSGPRsForWavesPerEU: 30
; NumVGPRsForWavesPerEU: 17
; Occupancy: 8
; WaveLimiterHint : 1
; COMPUTE_PGM_RSRC2:SCRATCH_EN: 0
; COMPUTE_PGM_RSRC2:USER_SGPR: 8
; COMPUTE_PGM_RSRC2:TRAP_HANDLER: 0
; COMPUTE_PGM_RSRC2:TGID_X_EN: 1
; COMPUTE_PGM_RSRC2:TGID_Y_EN: 1
; COMPUTE_PGM_RSRC2:TGID_Z_EN: 0
; COMPUTE_PGM_RSRC2:TIDIG_COMP_CNT: 2
	.section	.AMDGPU.gpr_maximums,"",@progbits
	.set amdgpu.max_num_vgpr, 0
	.set amdgpu.max_num_agpr, 0
	.set amdgpu.max_num_sgpr, 0
	.section	.AMDGPU.csdata,"",@progbits
	.type	__hip_cuid_7aa681836e96a366,@object ; @__hip_cuid_7aa681836e96a366
	.section	.bss,"aw",@nobits
	.globl	__hip_cuid_7aa681836e96a366
__hip_cuid_7aa681836e96a366:
	.byte	0                               ; 0x0
	.size	__hip_cuid_7aa681836e96a366, 1

	.ident	"AMD clang version 22.0.0git (https://github.com/RadeonOpenCompute/llvm-project roc-7.2.4 26084 f58b06dce1f9c15707c5f808fd002e18c2accf7e)"
	.section	".note.GNU-stack","",@progbits
	.addrsig
	.addrsig_sym __hip_cuid_7aa681836e96a366
	.amdgpu_metadata
---
amdhsa.kernels:
  - .args:
      - .address_space:  global
        .offset:         0
        .size:           8
        .value_kind:     global_buffer
      - .offset:         8
        .size:           4
        .value_kind:     by_value
      - .offset:         12
        .size:           4
        .value_kind:     by_value
    .group_segment_fixed_size: 0
    .kernarg_segment_align: 8
    .kernarg_segment_size: 16
    .language:       OpenCL C
    .language_version:
      - 2
      - 0
    .max_flat_workgroup_size: 32
    .name:           _ZN9rocsolver6v33100L6iota_nIfEEvPT_jS2_
    .private_segment_fixed_size: 0
    .sgpr_count:     10
    .sgpr_spill_count: 0
    .symbol:         _ZN9rocsolver6v33100L6iota_nIfEEvPT_jS2_.kd
    .uniform_work_group_size: 1
    .uses_dynamic_stack: false
    .vgpr_count:     2
    .vgpr_spill_count: 0
    .wavefront_size: 64
  - .args:
      - .address_space:  global
        .offset:         0
        .size:           8
        .value_kind:     global_buffer
      - .offset:         8
        .size:           4
        .value_kind:     by_value
      - .offset:         12
        .size:           4
        .value_kind:     by_value
      - .offset:         16
        .size:           4
        .value_kind:     by_value
      - .offset:         24
        .size:           4
        .value_kind:     hidden_block_count_x
      - .offset:         28
        .size:           4
        .value_kind:     hidden_block_count_y
      - .offset:         32
        .size:           4
        .value_kind:     hidden_block_count_z
      - .offset:         36
        .size:           2
        .value_kind:     hidden_group_size_x
      - .offset:         38
        .size:           2
        .value_kind:     hidden_group_size_y
      - .offset:         40
        .size:           2
        .value_kind:     hidden_group_size_z
      - .offset:         42
        .size:           2
        .value_kind:     hidden_remainder_x
      - .offset:         44
        .size:           2
        .value_kind:     hidden_remainder_y
      - .offset:         46
        .size:           2
        .value_kind:     hidden_remainder_z
      - .offset:         64
        .size:           8
        .value_kind:     hidden_global_offset_x
      - .offset:         72
        .size:           8
        .value_kind:     hidden_global_offset_y
      - .offset:         80
        .size:           8
        .value_kind:     hidden_global_offset_z
      - .offset:         88
        .size:           2
        .value_kind:     hidden_grid_dims
    .group_segment_fixed_size: 0
    .kernarg_segment_align: 8
    .kernarg_segment_size: 280
    .language:       OpenCL C
    .language_version:
      - 2
      - 0
    .max_flat_workgroup_size: 1024
    .name:           _ZN9rocsolver6v33100L10reset_infoIiiiEEvPT_T0_T1_S4_
    .private_segment_fixed_size: 0
    .sgpr_count:     12
    .sgpr_spill_count: 0
    .symbol:         _ZN9rocsolver6v33100L10reset_infoIiiiEEvPT_T0_T1_S4_.kd
    .uniform_work_group_size: 1
    .uses_dynamic_stack: false
    .vgpr_count:     4
    .vgpr_spill_count: 0
    .wavefront_size: 64
  - .args:
      - .offset:         0
        .size:           4
        .value_kind:     by_value
      - .address_space:  global
        .offset:         8
        .size:           8
        .value_kind:     global_buffer
      - .offset:         16
        .size:           8
        .value_kind:     by_value
      - .offset:         24
        .size:           4
        .value_kind:     hidden_block_count_x
      - .offset:         28
        .size:           4
        .value_kind:     hidden_block_count_y
      - .offset:         32
        .size:           4
        .value_kind:     hidden_block_count_z
      - .offset:         36
        .size:           2
        .value_kind:     hidden_group_size_x
      - .offset:         38
        .size:           2
        .value_kind:     hidden_group_size_y
      - .offset:         40
        .size:           2
        .value_kind:     hidden_group_size_z
      - .offset:         42
        .size:           2
        .value_kind:     hidden_remainder_x
      - .offset:         44
        .size:           2
        .value_kind:     hidden_remainder_y
      - .offset:         46
        .size:           2
        .value_kind:     hidden_remainder_z
      - .offset:         64
        .size:           8
        .value_kind:     hidden_global_offset_x
      - .offset:         72
        .size:           8
        .value_kind:     hidden_global_offset_y
      - .offset:         80
        .size:           8
        .value_kind:     hidden_global_offset_z
      - .offset:         88
        .size:           2
        .value_kind:     hidden_grid_dims
    .group_segment_fixed_size: 0
    .kernarg_segment_align: 8
    .kernarg_segment_size: 280
    .language:       OpenCL C
    .language_version:
      - 2
      - 0
    .max_flat_workgroup_size: 1024
    .name:           _ZN9rocsolver6v33100L17getf2_permut_initIfiEEvT0_PS2_l
    .private_segment_fixed_size: 0
    .sgpr_count:     12
    .sgpr_spill_count: 0
    .symbol:         _ZN9rocsolver6v33100L17getf2_permut_initIfiEEvT0_PS2_l.kd
    .uniform_work_group_size: 1
    .uses_dynamic_stack: false
    .vgpr_count:     4
    .vgpr_spill_count: 0
    .wavefront_size: 64
  - .args:
      - .offset:         0
        .size:           4
        .value_kind:     by_value
      - .address_space:  global
        .offset:         8
        .size:           8
        .value_kind:     global_buffer
      - .offset:         16
        .size:           8
        .value_kind:     by_value
      - .offset:         24
        .size:           4
        .value_kind:     by_value
      - .offset:         32
        .size:           8
        .value_kind:     by_value
      - .address_space:  global
        .offset:         40
        .size:           8
        .value_kind:     global_buffer
    .group_segment_fixed_size: 8192
    .kernarg_segment_align: 8
    .kernarg_segment_size: 48
    .language:       OpenCL C
    .language_version:
      - 2
      - 0
    .max_flat_workgroup_size: 1024
    .name:           _ZN9rocsolver6v33100L11getf2_iamaxIfiPfEEvT0_T1_lS3_lPS3_
    .private_segment_fixed_size: 0
    .sgpr_count:     24
    .sgpr_spill_count: 0
    .symbol:         _ZN9rocsolver6v33100L11getf2_iamaxIfiPfEEvT0_T1_lS3_lPS3_.kd
    .uniform_work_group_size: 1
    .uses_dynamic_stack: false
    .vgpr_count:     9
    .vgpr_spill_count: 0
    .wavefront_size: 64
  - .args:
      - .offset:         0
        .size:           4
        .value_kind:     by_value
      - .offset:         4
        .size:           4
        .value_kind:     by_value
      - .address_space:  global
        .offset:         8
        .size:           8
        .value_kind:     global_buffer
      - .offset:         16
        .size:           8
        .value_kind:     by_value
      - .offset:         24
        .size:           4
        .value_kind:     by_value
      - .offset:         28
        .size:           4
        .value_kind:     by_value
      - .offset:         32
        .size:           8
        .value_kind:     by_value
      - .address_space:  global
        .offset:         40
        .size:           8
        .value_kind:     global_buffer
      - .offset:         48
        .size:           8
        .value_kind:     by_value
      - .offset:         56
        .size:           8
        .value_kind:     by_value
      - .address_space:  global
        .offset:         64
        .size:           8
        .value_kind:     global_buffer
      - .address_space:  global
        .offset:         72
        .size:           8
        .value_kind:     global_buffer
      - .address_space:  global
        .offset:         80
        .size:           8
        .value_kind:     global_buffer
      - .offset:         88
        .size:           4
        .value_kind:     by_value
      - .address_space:  global
        .offset:         96
        .size:           8
        .value_kind:     global_buffer
      - .offset:         104
        .size:           8
        .value_kind:     by_value
      - .offset:         112
        .size:           4
        .value_kind:     hidden_block_count_x
      - .offset:         116
        .size:           4
        .value_kind:     hidden_block_count_y
      - .offset:         120
        .size:           4
        .value_kind:     hidden_block_count_z
      - .offset:         124
        .size:           2
        .value_kind:     hidden_group_size_x
      - .offset:         126
        .size:           2
        .value_kind:     hidden_group_size_y
      - .offset:         128
        .size:           2
        .value_kind:     hidden_group_size_z
      - .offset:         130
        .size:           2
        .value_kind:     hidden_remainder_x
      - .offset:         132
        .size:           2
        .value_kind:     hidden_remainder_y
      - .offset:         134
        .size:           2
        .value_kind:     hidden_remainder_z
      - .offset:         152
        .size:           8
        .value_kind:     hidden_global_offset_x
      - .offset:         160
        .size:           8
        .value_kind:     hidden_global_offset_y
      - .offset:         168
        .size:           8
        .value_kind:     hidden_global_offset_z
      - .offset:         176
        .size:           2
        .value_kind:     hidden_grid_dims
    .group_segment_fixed_size: 0
    .kernarg_segment_align: 8
    .kernarg_segment_size: 368
    .language:       OpenCL C
    .language_version:
      - 2
      - 0
    .max_flat_workgroup_size: 1024
    .name:           _ZN9rocsolver6v33100L23getf2_check_singularityIfiiPfEEvT0_S3_T2_lS3_S3_lPS3_llPT_S5_PT1_S3_S5_l
    .private_segment_fixed_size: 0
    .sgpr_count:     35
    .sgpr_spill_count: 0
    .symbol:         _ZN9rocsolver6v33100L23getf2_check_singularityIfiiPfEEvT0_S3_T2_lS3_S3_lPS3_llPT_S5_PT1_S3_S5_l.kd
    .uniform_work_group_size: 1
    .uses_dynamic_stack: false
    .vgpr_count:     7
    .vgpr_spill_count: 0
    .wavefront_size: 64
  - .args:
      - .offset:         0
        .size:           4
        .value_kind:     by_value
      - .address_space:  global
        .offset:         8
        .size:           8
        .value_kind:     global_buffer
      - .offset:         16
        .size:           8
        .value_kind:     by_value
      - .offset:         24
        .size:           4
        .value_kind:     by_value
      - .offset:         28
        .size:           4
        .value_kind:     by_value
      - .offset:         32
        .size:           8
        .value_kind:     by_value
      - .address_space:  global
        .offset:         40
        .size:           8
        .value_kind:     global_buffer
      - .address_space:  global
        .offset:         48
        .size:           8
        .value_kind:     global_buffer
      - .offset:         56
        .size:           4
        .value_kind:     by_value
    .group_segment_fixed_size: 0
    .kernarg_segment_align: 8
    .kernarg_segment_size: 60
    .language:       OpenCL C
    .language_version:
      - 2
      - 0
    .max_flat_workgroup_size: 1024
    .name:           _ZN9rocsolver6v33100L28getf2_npvt_check_singularityIfiiPfEEvT0_T2_lS3_S3_lPT_PT1_S3_
    .private_segment_fixed_size: 0
    .sgpr_count:     21
    .sgpr_spill_count: 0
    .symbol:         _ZN9rocsolver6v33100L28getf2_npvt_check_singularityIfiiPfEEvT0_T2_lS3_S3_lPT_PT1_S3_.kd
    .uniform_work_group_size: 1
    .uses_dynamic_stack: false
    .vgpr_count:     5
    .vgpr_spill_count: 0
    .wavefront_size: 64
  - .args:
      - .offset:         0
        .size:           4
        .value_kind:     by_value
      - .offset:         4
        .size:           4
        .value_kind:     by_value
      - .offset:         8
        .size:           4
        .value_kind:     by_value
      - .address_space:  global
        .offset:         16
        .size:           8
        .value_kind:     global_buffer
      - .offset:         24
        .size:           8
        .value_kind:     by_value
      - .offset:         32
        .size:           4
        .value_kind:     by_value
      - .offset:         36
        .size:           4
        .value_kind:     by_value
      - .offset:         40
        .size:           8
        .value_kind:     by_value
      - .address_space:  global
        .offset:         48
        .size:           8
        .value_kind:     global_buffer
      - .offset:         56
        .size:           8
        .value_kind:     by_value
      - .offset:         64
        .size:           4
        .value_kind:     hidden_block_count_x
      - .offset:         68
        .size:           4
        .value_kind:     hidden_block_count_y
      - .offset:         72
        .size:           4
        .value_kind:     hidden_block_count_z
      - .offset:         76
        .size:           2
        .value_kind:     hidden_group_size_x
      - .offset:         78
        .size:           2
        .value_kind:     hidden_group_size_y
      - .offset:         80
        .size:           2
        .value_kind:     hidden_group_size_z
      - .offset:         82
        .size:           2
        .value_kind:     hidden_remainder_x
      - .offset:         84
        .size:           2
        .value_kind:     hidden_remainder_y
      - .offset:         86
        .size:           2
        .value_kind:     hidden_remainder_z
      - .offset:         104
        .size:           8
        .value_kind:     hidden_global_offset_x
      - .offset:         112
        .size:           8
        .value_kind:     hidden_global_offset_y
      - .offset:         120
        .size:           8
        .value_kind:     hidden_global_offset_z
      - .offset:         128
        .size:           2
        .value_kind:     hidden_grid_dims
      - .offset:         184
        .size:           4
        .value_kind:     hidden_dynamic_lds_size
    .group_segment_fixed_size: 0
    .kernarg_segment_align: 8
    .kernarg_segment_size: 320
    .language:       OpenCL C
    .language_version:
      - 2
      - 0
    .max_flat_workgroup_size: 1024
    .name:           _ZN9rocsolver6v33100L19getrf_row_permutateIfiPfEEvT0_S3_S3_T1_lS3_S3_lPS3_l
    .private_segment_fixed_size: 0
    .sgpr_count:     24
    .sgpr_spill_count: 0
    .symbol:         _ZN9rocsolver6v33100L19getrf_row_permutateIfiPfEEvT0_S3_S3_T1_lS3_S3_lPS3_l.kd
    .uniform_work_group_size: 1
    .uses_dynamic_stack: false
    .vgpr_count:     10
    .vgpr_spill_count: 0
    .wavefront_size: 64
  - .args:
      - .offset:         0
        .size:           4
        .value_kind:     by_value
      - .offset:         4
        .size:           4
        .value_kind:     by_value
      - .address_space:  global
        .offset:         8
        .size:           8
        .value_kind:     global_buffer
      - .offset:         16
        .size:           4
        .value_kind:     by_value
      - .offset:         20
        .size:           4
        .value_kind:     by_value
      - .offset:         24
        .size:           8
        .value_kind:     by_value
      - .address_space:  global
        .offset:         32
        .size:           8
        .value_kind:     global_buffer
      - .offset:         40
        .size:           4
        .value_kind:     by_value
      - .offset:         44
        .size:           4
        .value_kind:     by_value
      - .offset:         48
        .size:           8
        .value_kind:     by_value
      - .offset:         56
        .size:           1
        .value_kind:     by_value
      - .offset:         60
        .size:           4
        .value_kind:     by_value
      - .offset:         64
        .size:           4
        .value_kind:     by_value
      - .offset:         72
        .size:           4
        .value_kind:     hidden_block_count_x
      - .offset:         76
        .size:           4
        .value_kind:     hidden_block_count_y
      - .offset:         80
        .size:           4
        .value_kind:     hidden_block_count_z
      - .offset:         84
        .size:           2
        .value_kind:     hidden_group_size_x
      - .offset:         86
        .size:           2
        .value_kind:     hidden_group_size_y
      - .offset:         88
        .size:           2
        .value_kind:     hidden_group_size_z
      - .offset:         90
        .size:           2
        .value_kind:     hidden_remainder_x
      - .offset:         92
        .size:           2
        .value_kind:     hidden_remainder_y
      - .offset:         94
        .size:           2
        .value_kind:     hidden_remainder_z
      - .offset:         112
        .size:           8
        .value_kind:     hidden_global_offset_x
      - .offset:         120
        .size:           8
        .value_kind:     hidden_global_offset_y
      - .offset:         128
        .size:           8
        .value_kind:     hidden_global_offset_z
      - .offset:         136
        .size:           2
        .value_kind:     hidden_grid_dims
    .group_segment_fixed_size: 0
    .kernarg_segment_align: 8
    .kernarg_segment_size: 328
    .language:       OpenCL C
    .language_version:
      - 2
      - 0
    .max_flat_workgroup_size: 1024
    .name:           _ZN9rocsolver6v33100L8copy_matIfPfS2_NS0_7no_maskEEEviiT0_iilT1_iilT2_13rocblas_fill_17rocblas_diagonal_
    .private_segment_fixed_size: 0
    .sgpr_count:     24
    .sgpr_spill_count: 0
    .symbol:         _ZN9rocsolver6v33100L8copy_matIfPfS2_NS0_7no_maskEEEviiT0_iilT1_iilT2_13rocblas_fill_17rocblas_diagonal_.kd
    .uniform_work_group_size: 1
    .uses_dynamic_stack: false
    .vgpr_count:     6
    .vgpr_spill_count: 0
    .wavefront_size: 64
  - .args:
      - .offset:         0
        .size:           4
        .value_kind:     by_value
      - .address_space:  global
        .offset:         8
        .size:           8
        .value_kind:     global_buffer
      - .offset:         16
        .size:           8
        .value_kind:     by_value
      - .offset:         24
        .size:           4
        .value_kind:     by_value
      - .offset:         28
        .size:           4
        .value_kind:     by_value
      - .offset:         32
        .size:           8
        .value_kind:     by_value
      - .offset:         40
        .size:           4
        .value_kind:     by_value
      - .offset:         44
        .size:           4
        .value_kind:     by_value
      - .address_space:  global
        .offset:         48
        .size:           8
        .value_kind:     global_buffer
      - .offset:         56
        .size:           8
        .value_kind:     by_value
      - .offset:         64
        .size:           4
        .value_kind:     by_value
      - .offset:         72
        .size:           8
        .value_kind:     by_value
      - .offset:         80
        .size:           4
        .value_kind:     hidden_block_count_x
      - .offset:         84
        .size:           4
        .value_kind:     hidden_block_count_y
      - .offset:         88
        .size:           4
        .value_kind:     hidden_block_count_z
      - .offset:         92
        .size:           2
        .value_kind:     hidden_group_size_x
      - .offset:         94
        .size:           2
        .value_kind:     hidden_group_size_y
      - .offset:         96
        .size:           2
        .value_kind:     hidden_group_size_z
      - .offset:         98
        .size:           2
        .value_kind:     hidden_remainder_x
      - .offset:         100
        .size:           2
        .value_kind:     hidden_remainder_y
      - .offset:         102
        .size:           2
        .value_kind:     hidden_remainder_z
      - .offset:         120
        .size:           8
        .value_kind:     hidden_global_offset_x
      - .offset:         128
        .size:           8
        .value_kind:     hidden_global_offset_y
      - .offset:         136
        .size:           8
        .value_kind:     hidden_global_offset_z
      - .offset:         144
        .size:           2
        .value_kind:     hidden_grid_dims
    .group_segment_fixed_size: 0
    .kernarg_segment_align: 8
    .kernarg_segment_size: 336
    .language:       OpenCL C
    .language_version:
      - 2
      - 0
    .max_flat_workgroup_size: 1024
    .name:           _ZN9rocsolver6v33100L12laswp_kernelIfiPfEEvT0_T1_lS3_S3_lS3_S3_PKS3_lS3_l
    .private_segment_fixed_size: 0
    .sgpr_count:     28
    .sgpr_spill_count: 0
    .symbol:         _ZN9rocsolver6v33100L12laswp_kernelIfiPfEEvT0_T1_lS3_S3_lS3_S3_PKS3_lS3_l.kd
    .uniform_work_group_size: 1
    .uses_dynamic_stack: false
    .vgpr_count:     8
    .vgpr_spill_count: 0
    .wavefront_size: 64
  - .args:
      - .address_space:  global
        .offset:         0
        .size:           8
        .value_kind:     global_buffer
      - .offset:         8
        .size:           4
        .value_kind:     by_value
      - .offset:         16
        .size:           8
        .value_kind:     by_value
    .group_segment_fixed_size: 0
    .kernarg_segment_align: 8
    .kernarg_segment_size: 24
    .language:       OpenCL C
    .language_version:
      - 2
      - 0
    .max_flat_workgroup_size: 32
    .name:           _ZN9rocsolver6v33100L6iota_nIdEEvPT_jS2_
    .private_segment_fixed_size: 0
    .sgpr_count:     10
    .sgpr_spill_count: 0
    .symbol:         _ZN9rocsolver6v33100L6iota_nIdEEvPT_jS2_.kd
    .uniform_work_group_size: 1
    .uses_dynamic_stack: false
    .vgpr_count:     3
    .vgpr_spill_count: 0
    .wavefront_size: 64
  - .args:
      - .offset:         0
        .size:           4
        .value_kind:     by_value
      - .address_space:  global
        .offset:         8
        .size:           8
        .value_kind:     global_buffer
      - .offset:         16
        .size:           8
        .value_kind:     by_value
      - .offset:         24
        .size:           4
        .value_kind:     hidden_block_count_x
      - .offset:         28
        .size:           4
        .value_kind:     hidden_block_count_y
      - .offset:         32
        .size:           4
        .value_kind:     hidden_block_count_z
      - .offset:         36
        .size:           2
        .value_kind:     hidden_group_size_x
      - .offset:         38
        .size:           2
        .value_kind:     hidden_group_size_y
      - .offset:         40
        .size:           2
        .value_kind:     hidden_group_size_z
      - .offset:         42
        .size:           2
        .value_kind:     hidden_remainder_x
      - .offset:         44
        .size:           2
        .value_kind:     hidden_remainder_y
      - .offset:         46
        .size:           2
        .value_kind:     hidden_remainder_z
      - .offset:         64
        .size:           8
        .value_kind:     hidden_global_offset_x
      - .offset:         72
        .size:           8
        .value_kind:     hidden_global_offset_y
      - .offset:         80
        .size:           8
        .value_kind:     hidden_global_offset_z
      - .offset:         88
        .size:           2
        .value_kind:     hidden_grid_dims
    .group_segment_fixed_size: 0
    .kernarg_segment_align: 8
    .kernarg_segment_size: 280
    .language:       OpenCL C
    .language_version:
      - 2
      - 0
    .max_flat_workgroup_size: 1024
    .name:           _ZN9rocsolver6v33100L17getf2_permut_initIdiEEvT0_PS2_l
    .private_segment_fixed_size: 0
    .sgpr_count:     12
    .sgpr_spill_count: 0
    .symbol:         _ZN9rocsolver6v33100L17getf2_permut_initIdiEEvT0_PS2_l.kd
    .uniform_work_group_size: 1
    .uses_dynamic_stack: false
    .vgpr_count:     4
    .vgpr_spill_count: 0
    .wavefront_size: 64
  - .args:
      - .offset:         0
        .size:           4
        .value_kind:     by_value
      - .address_space:  global
        .offset:         8
        .size:           8
        .value_kind:     global_buffer
      - .offset:         16
        .size:           8
        .value_kind:     by_value
      - .offset:         24
        .size:           4
        .value_kind:     by_value
      - .offset:         32
        .size:           8
        .value_kind:     by_value
      - .address_space:  global
        .offset:         40
        .size:           8
        .value_kind:     global_buffer
    .group_segment_fixed_size: 12288
    .kernarg_segment_align: 8
    .kernarg_segment_size: 48
    .language:       OpenCL C
    .language_version:
      - 2
      - 0
    .max_flat_workgroup_size: 1024
    .name:           _ZN9rocsolver6v33100L11getf2_iamaxIdiPdEEvT0_T1_lS3_lPS3_
    .private_segment_fixed_size: 0
    .sgpr_count:     24
    .sgpr_spill_count: 0
    .symbol:         _ZN9rocsolver6v33100L11getf2_iamaxIdiPdEEvT0_T1_lS3_lPS3_.kd
    .uniform_work_group_size: 1
    .uses_dynamic_stack: false
    .vgpr_count:     10
    .vgpr_spill_count: 0
    .wavefront_size: 64
  - .args:
      - .offset:         0
        .size:           4
        .value_kind:     by_value
      - .offset:         4
        .size:           4
        .value_kind:     by_value
      - .address_space:  global
        .offset:         8
        .size:           8
        .value_kind:     global_buffer
      - .offset:         16
        .size:           8
        .value_kind:     by_value
      - .offset:         24
        .size:           4
        .value_kind:     by_value
      - .offset:         28
        .size:           4
        .value_kind:     by_value
      - .offset:         32
        .size:           8
        .value_kind:     by_value
      - .address_space:  global
        .offset:         40
        .size:           8
        .value_kind:     global_buffer
      - .offset:         48
        .size:           8
        .value_kind:     by_value
      - .offset:         56
        .size:           8
        .value_kind:     by_value
      - .address_space:  global
        .offset:         64
        .size:           8
        .value_kind:     global_buffer
      - .address_space:  global
        .offset:         72
        .size:           8
        .value_kind:     global_buffer
      - .address_space:  global
        .offset:         80
        .size:           8
        .value_kind:     global_buffer
      - .offset:         88
        .size:           4
        .value_kind:     by_value
      - .address_space:  global
        .offset:         96
        .size:           8
        .value_kind:     global_buffer
      - .offset:         104
        .size:           8
        .value_kind:     by_value
      - .offset:         112
        .size:           4
        .value_kind:     hidden_block_count_x
      - .offset:         116
        .size:           4
        .value_kind:     hidden_block_count_y
      - .offset:         120
        .size:           4
        .value_kind:     hidden_block_count_z
      - .offset:         124
        .size:           2
        .value_kind:     hidden_group_size_x
      - .offset:         126
        .size:           2
        .value_kind:     hidden_group_size_y
      - .offset:         128
        .size:           2
        .value_kind:     hidden_group_size_z
      - .offset:         130
        .size:           2
        .value_kind:     hidden_remainder_x
      - .offset:         132
        .size:           2
        .value_kind:     hidden_remainder_y
      - .offset:         134
        .size:           2
        .value_kind:     hidden_remainder_z
      - .offset:         152
        .size:           8
        .value_kind:     hidden_global_offset_x
      - .offset:         160
        .size:           8
        .value_kind:     hidden_global_offset_y
      - .offset:         168
        .size:           8
        .value_kind:     hidden_global_offset_z
      - .offset:         176
        .size:           2
        .value_kind:     hidden_grid_dims
    .group_segment_fixed_size: 0
    .kernarg_segment_align: 8
    .kernarg_segment_size: 368
    .language:       OpenCL C
    .language_version:
      - 2
      - 0
    .max_flat_workgroup_size: 1024
    .name:           _ZN9rocsolver6v33100L23getf2_check_singularityIdiiPdEEvT0_S3_T2_lS3_S3_lPS3_llPT_S5_PT1_S3_S5_l
    .private_segment_fixed_size: 0
    .sgpr_count:     35
    .sgpr_spill_count: 0
    .symbol:         _ZN9rocsolver6v33100L23getf2_check_singularityIdiiPdEEvT0_S3_T2_lS3_S3_lPS3_llPT_S5_PT1_S3_S5_l.kd
    .uniform_work_group_size: 1
    .uses_dynamic_stack: false
    .vgpr_count:     10
    .vgpr_spill_count: 0
    .wavefront_size: 64
  - .args:
      - .offset:         0
        .size:           4
        .value_kind:     by_value
      - .address_space:  global
        .offset:         8
        .size:           8
        .value_kind:     global_buffer
      - .offset:         16
        .size:           8
        .value_kind:     by_value
      - .offset:         24
        .size:           4
        .value_kind:     by_value
      - .offset:         28
        .size:           4
        .value_kind:     by_value
      - .offset:         32
        .size:           8
        .value_kind:     by_value
      - .address_space:  global
        .offset:         40
        .size:           8
        .value_kind:     global_buffer
      - .address_space:  global
        .offset:         48
        .size:           8
        .value_kind:     global_buffer
      - .offset:         56
        .size:           4
        .value_kind:     by_value
    .group_segment_fixed_size: 0
    .kernarg_segment_align: 8
    .kernarg_segment_size: 60
    .language:       OpenCL C
    .language_version:
      - 2
      - 0
    .max_flat_workgroup_size: 1024
    .name:           _ZN9rocsolver6v33100L28getf2_npvt_check_singularityIdiiPdEEvT0_T2_lS3_S3_lPT_PT1_S3_
    .private_segment_fixed_size: 0
    .sgpr_count:     21
    .sgpr_spill_count: 0
    .symbol:         _ZN9rocsolver6v33100L28getf2_npvt_check_singularityIdiiPdEEvT0_T2_lS3_S3_lPT_PT1_S3_.kd
    .uniform_work_group_size: 1
    .uses_dynamic_stack: false
    .vgpr_count:     8
    .vgpr_spill_count: 0
    .wavefront_size: 64
  - .args:
      - .offset:         0
        .size:           4
        .value_kind:     by_value
      - .offset:         4
        .size:           4
        .value_kind:     by_value
      - .offset:         8
        .size:           4
        .value_kind:     by_value
      - .address_space:  global
        .offset:         16
        .size:           8
        .value_kind:     global_buffer
      - .offset:         24
        .size:           8
        .value_kind:     by_value
      - .offset:         32
        .size:           4
        .value_kind:     by_value
      - .offset:         36
        .size:           4
        .value_kind:     by_value
      - .offset:         40
        .size:           8
        .value_kind:     by_value
      - .address_space:  global
        .offset:         48
        .size:           8
        .value_kind:     global_buffer
      - .offset:         56
        .size:           8
        .value_kind:     by_value
      - .offset:         64
        .size:           4
        .value_kind:     hidden_block_count_x
      - .offset:         68
        .size:           4
        .value_kind:     hidden_block_count_y
      - .offset:         72
        .size:           4
        .value_kind:     hidden_block_count_z
      - .offset:         76
        .size:           2
        .value_kind:     hidden_group_size_x
      - .offset:         78
        .size:           2
        .value_kind:     hidden_group_size_y
      - .offset:         80
        .size:           2
        .value_kind:     hidden_group_size_z
      - .offset:         82
        .size:           2
        .value_kind:     hidden_remainder_x
      - .offset:         84
        .size:           2
        .value_kind:     hidden_remainder_y
      - .offset:         86
        .size:           2
        .value_kind:     hidden_remainder_z
      - .offset:         104
        .size:           8
        .value_kind:     hidden_global_offset_x
      - .offset:         112
        .size:           8
        .value_kind:     hidden_global_offset_y
      - .offset:         120
        .size:           8
        .value_kind:     hidden_global_offset_z
      - .offset:         128
        .size:           2
        .value_kind:     hidden_grid_dims
      - .offset:         184
        .size:           4
        .value_kind:     hidden_dynamic_lds_size
    .group_segment_fixed_size: 0
    .kernarg_segment_align: 8
    .kernarg_segment_size: 320
    .language:       OpenCL C
    .language_version:
      - 2
      - 0
    .max_flat_workgroup_size: 1024
    .name:           _ZN9rocsolver6v33100L19getrf_row_permutateIdiPdEEvT0_S3_S3_T1_lS3_S3_lPS3_l
    .private_segment_fixed_size: 0
    .sgpr_count:     24
    .sgpr_spill_count: 0
    .symbol:         _ZN9rocsolver6v33100L19getrf_row_permutateIdiPdEEvT0_S3_S3_T1_lS3_S3_lPS3_l.kd
    .uniform_work_group_size: 1
    .uses_dynamic_stack: false
    .vgpr_count:     12
    .vgpr_spill_count: 0
    .wavefront_size: 64
  - .args:
      - .offset:         0
        .size:           4
        .value_kind:     by_value
      - .offset:         4
        .size:           4
        .value_kind:     by_value
      - .address_space:  global
        .offset:         8
        .size:           8
        .value_kind:     global_buffer
      - .offset:         16
        .size:           4
        .value_kind:     by_value
      - .offset:         20
        .size:           4
        .value_kind:     by_value
      - .offset:         24
        .size:           8
        .value_kind:     by_value
      - .address_space:  global
        .offset:         32
        .size:           8
        .value_kind:     global_buffer
      - .offset:         40
        .size:           4
        .value_kind:     by_value
      - .offset:         44
        .size:           4
        .value_kind:     by_value
      - .offset:         48
        .size:           8
        .value_kind:     by_value
      - .offset:         56
        .size:           1
        .value_kind:     by_value
      - .offset:         60
        .size:           4
        .value_kind:     by_value
      - .offset:         64
        .size:           4
        .value_kind:     by_value
      - .offset:         72
        .size:           4
        .value_kind:     hidden_block_count_x
      - .offset:         76
        .size:           4
        .value_kind:     hidden_block_count_y
      - .offset:         80
        .size:           4
        .value_kind:     hidden_block_count_z
      - .offset:         84
        .size:           2
        .value_kind:     hidden_group_size_x
      - .offset:         86
        .size:           2
        .value_kind:     hidden_group_size_y
      - .offset:         88
        .size:           2
        .value_kind:     hidden_group_size_z
      - .offset:         90
        .size:           2
        .value_kind:     hidden_remainder_x
      - .offset:         92
        .size:           2
        .value_kind:     hidden_remainder_y
      - .offset:         94
        .size:           2
        .value_kind:     hidden_remainder_z
      - .offset:         112
        .size:           8
        .value_kind:     hidden_global_offset_x
      - .offset:         120
        .size:           8
        .value_kind:     hidden_global_offset_y
      - .offset:         128
        .size:           8
        .value_kind:     hidden_global_offset_z
      - .offset:         136
        .size:           2
        .value_kind:     hidden_grid_dims
    .group_segment_fixed_size: 0
    .kernarg_segment_align: 8
    .kernarg_segment_size: 328
    .language:       OpenCL C
    .language_version:
      - 2
      - 0
    .max_flat_workgroup_size: 1024
    .name:           _ZN9rocsolver6v33100L8copy_matIdPdS2_NS0_7no_maskEEEviiT0_iilT1_iilT2_13rocblas_fill_17rocblas_diagonal_
    .private_segment_fixed_size: 0
    .sgpr_count:     24
    .sgpr_spill_count: 0
    .symbol:         _ZN9rocsolver6v33100L8copy_matIdPdS2_NS0_7no_maskEEEviiT0_iilT1_iilT2_13rocblas_fill_17rocblas_diagonal_.kd
    .uniform_work_group_size: 1
    .uses_dynamic_stack: false
    .vgpr_count:     6
    .vgpr_spill_count: 0
    .wavefront_size: 64
  - .args:
      - .offset:         0
        .size:           4
        .value_kind:     by_value
      - .address_space:  global
        .offset:         8
        .size:           8
        .value_kind:     global_buffer
      - .offset:         16
        .size:           8
        .value_kind:     by_value
      - .offset:         24
        .size:           4
        .value_kind:     by_value
      - .offset:         28
        .size:           4
        .value_kind:     by_value
      - .offset:         32
        .size:           8
        .value_kind:     by_value
      - .offset:         40
        .size:           4
        .value_kind:     by_value
      - .offset:         44
        .size:           4
        .value_kind:     by_value
      - .address_space:  global
        .offset:         48
        .size:           8
        .value_kind:     global_buffer
      - .offset:         56
        .size:           8
        .value_kind:     by_value
      - .offset:         64
        .size:           4
        .value_kind:     by_value
      - .offset:         72
        .size:           8
        .value_kind:     by_value
      - .offset:         80
        .size:           4
        .value_kind:     hidden_block_count_x
      - .offset:         84
        .size:           4
        .value_kind:     hidden_block_count_y
      - .offset:         88
        .size:           4
        .value_kind:     hidden_block_count_z
      - .offset:         92
        .size:           2
        .value_kind:     hidden_group_size_x
      - .offset:         94
        .size:           2
        .value_kind:     hidden_group_size_y
      - .offset:         96
        .size:           2
        .value_kind:     hidden_group_size_z
      - .offset:         98
        .size:           2
        .value_kind:     hidden_remainder_x
      - .offset:         100
        .size:           2
        .value_kind:     hidden_remainder_y
      - .offset:         102
        .size:           2
        .value_kind:     hidden_remainder_z
      - .offset:         120
        .size:           8
        .value_kind:     hidden_global_offset_x
      - .offset:         128
        .size:           8
        .value_kind:     hidden_global_offset_y
      - .offset:         136
        .size:           8
        .value_kind:     hidden_global_offset_z
      - .offset:         144
        .size:           2
        .value_kind:     hidden_grid_dims
    .group_segment_fixed_size: 0
    .kernarg_segment_align: 8
    .kernarg_segment_size: 336
    .language:       OpenCL C
    .language_version:
      - 2
      - 0
    .max_flat_workgroup_size: 1024
    .name:           _ZN9rocsolver6v33100L12laswp_kernelIdiPdEEvT0_T1_lS3_S3_lS3_S3_PKS3_lS3_l
    .private_segment_fixed_size: 0
    .sgpr_count:     28
    .sgpr_spill_count: 0
    .symbol:         _ZN9rocsolver6v33100L12laswp_kernelIdiPdEEvT0_T1_lS3_S3_lS3_S3_PKS3_lS3_l.kd
    .uniform_work_group_size: 1
    .uses_dynamic_stack: false
    .vgpr_count:     11
    .vgpr_spill_count: 0
    .wavefront_size: 64
  - .args:
      - .address_space:  global
        .offset:         0
        .size:           8
        .value_kind:     global_buffer
      - .offset:         8
        .size:           4
        .value_kind:     by_value
      - .offset:         12
        .size:           8
        .value_kind:     by_value
    .group_segment_fixed_size: 0
    .kernarg_segment_align: 8
    .kernarg_segment_size: 20
    .language:       OpenCL C
    .language_version:
      - 2
      - 0
    .max_flat_workgroup_size: 32
    .name:           _ZN9rocsolver6v33100L6iota_nI19rocblas_complex_numIfEEEvPT_jS4_
    .private_segment_fixed_size: 0
    .sgpr_count:     10
    .sgpr_spill_count: 0
    .symbol:         _ZN9rocsolver6v33100L6iota_nI19rocblas_complex_numIfEEEvPT_jS4_.kd
    .uniform_work_group_size: 1
    .uses_dynamic_stack: false
    .vgpr_count:     3
    .vgpr_spill_count: 0
    .wavefront_size: 64
  - .args:
      - .offset:         0
        .size:           4
        .value_kind:     by_value
      - .address_space:  global
        .offset:         8
        .size:           8
        .value_kind:     global_buffer
      - .offset:         16
        .size:           8
        .value_kind:     by_value
      - .offset:         24
        .size:           4
        .value_kind:     hidden_block_count_x
      - .offset:         28
        .size:           4
        .value_kind:     hidden_block_count_y
      - .offset:         32
        .size:           4
        .value_kind:     hidden_block_count_z
      - .offset:         36
        .size:           2
        .value_kind:     hidden_group_size_x
      - .offset:         38
        .size:           2
        .value_kind:     hidden_group_size_y
      - .offset:         40
        .size:           2
        .value_kind:     hidden_group_size_z
      - .offset:         42
        .size:           2
        .value_kind:     hidden_remainder_x
      - .offset:         44
        .size:           2
        .value_kind:     hidden_remainder_y
      - .offset:         46
        .size:           2
        .value_kind:     hidden_remainder_z
      - .offset:         64
        .size:           8
        .value_kind:     hidden_global_offset_x
      - .offset:         72
        .size:           8
        .value_kind:     hidden_global_offset_y
      - .offset:         80
        .size:           8
        .value_kind:     hidden_global_offset_z
      - .offset:         88
        .size:           2
        .value_kind:     hidden_grid_dims
    .group_segment_fixed_size: 0
    .kernarg_segment_align: 8
    .kernarg_segment_size: 280
    .language:       OpenCL C
    .language_version:
      - 2
      - 0
    .max_flat_workgroup_size: 1024
    .name:           _ZN9rocsolver6v33100L17getf2_permut_initI19rocblas_complex_numIfEiEEvT0_PS4_l
    .private_segment_fixed_size: 0
    .sgpr_count:     12
    .sgpr_spill_count: 0
    .symbol:         _ZN9rocsolver6v33100L17getf2_permut_initI19rocblas_complex_numIfEiEEvT0_PS4_l.kd
    .uniform_work_group_size: 1
    .uses_dynamic_stack: false
    .vgpr_count:     4
    .vgpr_spill_count: 0
    .wavefront_size: 64
  - .args:
      - .offset:         0
        .size:           4
        .value_kind:     by_value
      - .address_space:  global
        .offset:         8
        .size:           8
        .value_kind:     global_buffer
      - .offset:         16
        .size:           8
        .value_kind:     by_value
      - .offset:         24
        .size:           4
        .value_kind:     by_value
      - .offset:         32
        .size:           8
        .value_kind:     by_value
      - .address_space:  global
        .offset:         40
        .size:           8
        .value_kind:     global_buffer
    .group_segment_fixed_size: 8192
    .kernarg_segment_align: 8
    .kernarg_segment_size: 48
    .language:       OpenCL C
    .language_version:
      - 2
      - 0
    .max_flat_workgroup_size: 1024
    .name:           _ZN9rocsolver6v33100L11getf2_iamaxI19rocblas_complex_numIfEiPS3_EEvT0_T1_lS5_lPS5_
    .private_segment_fixed_size: 0
    .sgpr_count:     20
    .sgpr_spill_count: 0
    .symbol:         _ZN9rocsolver6v33100L11getf2_iamaxI19rocblas_complex_numIfEiPS3_EEvT0_T1_lS5_lPS5_.kd
    .uniform_work_group_size: 1
    .uses_dynamic_stack: false
    .vgpr_count:     9
    .vgpr_spill_count: 0
    .wavefront_size: 64
  - .args:
      - .offset:         0
        .size:           4
        .value_kind:     by_value
      - .offset:         4
        .size:           4
        .value_kind:     by_value
      - .address_space:  global
        .offset:         8
        .size:           8
        .value_kind:     global_buffer
      - .offset:         16
        .size:           8
        .value_kind:     by_value
      - .offset:         24
        .size:           4
        .value_kind:     by_value
      - .offset:         28
        .size:           4
        .value_kind:     by_value
      - .offset:         32
        .size:           8
        .value_kind:     by_value
      - .address_space:  global
        .offset:         40
        .size:           8
        .value_kind:     global_buffer
      - .offset:         48
        .size:           8
        .value_kind:     by_value
      - .offset:         56
        .size:           8
        .value_kind:     by_value
      - .address_space:  global
        .offset:         64
        .size:           8
        .value_kind:     global_buffer
      - .address_space:  global
        .offset:         72
        .size:           8
        .value_kind:     global_buffer
      - .address_space:  global
        .offset:         80
        .size:           8
        .value_kind:     global_buffer
      - .offset:         88
        .size:           4
        .value_kind:     by_value
      - .address_space:  global
        .offset:         96
        .size:           8
        .value_kind:     global_buffer
      - .offset:         104
        .size:           8
        .value_kind:     by_value
      - .offset:         112
        .size:           4
        .value_kind:     hidden_block_count_x
      - .offset:         116
        .size:           4
        .value_kind:     hidden_block_count_y
      - .offset:         120
        .size:           4
        .value_kind:     hidden_block_count_z
      - .offset:         124
        .size:           2
        .value_kind:     hidden_group_size_x
      - .offset:         126
        .size:           2
        .value_kind:     hidden_group_size_y
      - .offset:         128
        .size:           2
        .value_kind:     hidden_group_size_z
      - .offset:         130
        .size:           2
        .value_kind:     hidden_remainder_x
      - .offset:         132
        .size:           2
        .value_kind:     hidden_remainder_y
      - .offset:         134
        .size:           2
        .value_kind:     hidden_remainder_z
      - .offset:         152
        .size:           8
        .value_kind:     hidden_global_offset_x
      - .offset:         160
        .size:           8
        .value_kind:     hidden_global_offset_y
      - .offset:         168
        .size:           8
        .value_kind:     hidden_global_offset_z
      - .offset:         176
        .size:           2
        .value_kind:     hidden_grid_dims
    .group_segment_fixed_size: 0
    .kernarg_segment_align: 8
    .kernarg_segment_size: 368
    .language:       OpenCL C
    .language_version:
      - 2
      - 0
    .max_flat_workgroup_size: 1024
    .name:           _ZN9rocsolver6v33100L23getf2_check_singularityI19rocblas_complex_numIfEiiPS3_EEvT0_S5_T2_lS5_S5_lPS5_llPT_S7_PT1_S5_S7_l
    .private_segment_fixed_size: 0
    .sgpr_count:     35
    .sgpr_spill_count: 0
    .symbol:         _ZN9rocsolver6v33100L23getf2_check_singularityI19rocblas_complex_numIfEiiPS3_EEvT0_S5_T2_lS5_S5_lPS5_llPT_S7_PT1_S5_S7_l.kd
    .uniform_work_group_size: 1
    .uses_dynamic_stack: false
    .vgpr_count:     9
    .vgpr_spill_count: 0
    .wavefront_size: 64
  - .args:
      - .offset:         0
        .size:           4
        .value_kind:     by_value
      - .address_space:  global
        .offset:         8
        .size:           8
        .value_kind:     global_buffer
      - .offset:         16
        .size:           8
        .value_kind:     by_value
      - .offset:         24
        .size:           4
        .value_kind:     by_value
      - .offset:         28
        .size:           4
        .value_kind:     by_value
      - .offset:         32
        .size:           8
        .value_kind:     by_value
      - .address_space:  global
        .offset:         40
        .size:           8
        .value_kind:     global_buffer
      - .address_space:  global
        .offset:         48
        .size:           8
        .value_kind:     global_buffer
      - .offset:         56
        .size:           4
        .value_kind:     by_value
    .group_segment_fixed_size: 0
    .kernarg_segment_align: 8
    .kernarg_segment_size: 60
    .language:       OpenCL C
    .language_version:
      - 2
      - 0
    .max_flat_workgroup_size: 1024
    .name:           _ZN9rocsolver6v33100L28getf2_npvt_check_singularityI19rocblas_complex_numIfEiiPS3_EEvT0_T2_lS5_S5_lPT_PT1_S5_
    .private_segment_fixed_size: 0
    .sgpr_count:     21
    .sgpr_spill_count: 0
    .symbol:         _ZN9rocsolver6v33100L28getf2_npvt_check_singularityI19rocblas_complex_numIfEiiPS3_EEvT0_T2_lS5_S5_lPT_PT1_S5_.kd
    .uniform_work_group_size: 1
    .uses_dynamic_stack: false
    .vgpr_count:     7
    .vgpr_spill_count: 0
    .wavefront_size: 64
  - .args:
      - .offset:         0
        .size:           4
        .value_kind:     by_value
      - .offset:         4
        .size:           4
        .value_kind:     by_value
      - .offset:         8
        .size:           4
        .value_kind:     by_value
      - .address_space:  global
        .offset:         16
        .size:           8
        .value_kind:     global_buffer
      - .offset:         24
        .size:           8
        .value_kind:     by_value
      - .offset:         32
        .size:           4
        .value_kind:     by_value
      - .offset:         36
        .size:           4
        .value_kind:     by_value
      - .offset:         40
        .size:           8
        .value_kind:     by_value
      - .address_space:  global
        .offset:         48
        .size:           8
        .value_kind:     global_buffer
      - .offset:         56
        .size:           8
        .value_kind:     by_value
      - .offset:         64
        .size:           4
        .value_kind:     hidden_block_count_x
      - .offset:         68
        .size:           4
        .value_kind:     hidden_block_count_y
      - .offset:         72
        .size:           4
        .value_kind:     hidden_block_count_z
      - .offset:         76
        .size:           2
        .value_kind:     hidden_group_size_x
      - .offset:         78
        .size:           2
        .value_kind:     hidden_group_size_y
      - .offset:         80
        .size:           2
        .value_kind:     hidden_group_size_z
      - .offset:         82
        .size:           2
        .value_kind:     hidden_remainder_x
      - .offset:         84
        .size:           2
        .value_kind:     hidden_remainder_y
      - .offset:         86
        .size:           2
        .value_kind:     hidden_remainder_z
      - .offset:         104
        .size:           8
        .value_kind:     hidden_global_offset_x
      - .offset:         112
        .size:           8
        .value_kind:     hidden_global_offset_y
      - .offset:         120
        .size:           8
        .value_kind:     hidden_global_offset_z
      - .offset:         128
        .size:           2
        .value_kind:     hidden_grid_dims
      - .offset:         184
        .size:           4
        .value_kind:     hidden_dynamic_lds_size
    .group_segment_fixed_size: 0
    .kernarg_segment_align: 8
    .kernarg_segment_size: 320
    .language:       OpenCL C
    .language_version:
      - 2
      - 0
    .max_flat_workgroup_size: 1024
    .name:           _ZN9rocsolver6v33100L19getrf_row_permutateI19rocblas_complex_numIfEiPS3_EEvT0_S5_S5_T1_lS5_S5_lPS5_l
    .private_segment_fixed_size: 0
    .sgpr_count:     24
    .sgpr_spill_count: 0
    .symbol:         _ZN9rocsolver6v33100L19getrf_row_permutateI19rocblas_complex_numIfEiPS3_EEvT0_S5_S5_T1_lS5_S5_lPS5_l.kd
    .uniform_work_group_size: 1
    .uses_dynamic_stack: false
    .vgpr_count:     12
    .vgpr_spill_count: 0
    .wavefront_size: 64
  - .args:
      - .offset:         0
        .size:           4
        .value_kind:     by_value
      - .offset:         4
        .size:           4
        .value_kind:     by_value
      - .address_space:  global
        .offset:         8
        .size:           8
        .value_kind:     global_buffer
      - .offset:         16
        .size:           4
        .value_kind:     by_value
      - .offset:         20
        .size:           4
        .value_kind:     by_value
      - .offset:         24
        .size:           8
        .value_kind:     by_value
      - .address_space:  global
        .offset:         32
        .size:           8
        .value_kind:     global_buffer
      - .offset:         40
        .size:           4
        .value_kind:     by_value
      - .offset:         44
        .size:           4
        .value_kind:     by_value
      - .offset:         48
        .size:           8
        .value_kind:     by_value
      - .offset:         56
        .size:           1
        .value_kind:     by_value
      - .offset:         60
        .size:           4
        .value_kind:     by_value
      - .offset:         64
        .size:           4
        .value_kind:     by_value
      - .offset:         72
        .size:           4
        .value_kind:     hidden_block_count_x
      - .offset:         76
        .size:           4
        .value_kind:     hidden_block_count_y
      - .offset:         80
        .size:           4
        .value_kind:     hidden_block_count_z
      - .offset:         84
        .size:           2
        .value_kind:     hidden_group_size_x
      - .offset:         86
        .size:           2
        .value_kind:     hidden_group_size_y
      - .offset:         88
        .size:           2
        .value_kind:     hidden_group_size_z
      - .offset:         90
        .size:           2
        .value_kind:     hidden_remainder_x
      - .offset:         92
        .size:           2
        .value_kind:     hidden_remainder_y
      - .offset:         94
        .size:           2
        .value_kind:     hidden_remainder_z
      - .offset:         112
        .size:           8
        .value_kind:     hidden_global_offset_x
      - .offset:         120
        .size:           8
        .value_kind:     hidden_global_offset_y
      - .offset:         128
        .size:           8
        .value_kind:     hidden_global_offset_z
      - .offset:         136
        .size:           2
        .value_kind:     hidden_grid_dims
    .group_segment_fixed_size: 0
    .kernarg_segment_align: 8
    .kernarg_segment_size: 328
    .language:       OpenCL C
    .language_version:
      - 2
      - 0
    .max_flat_workgroup_size: 1024
    .name:           _ZN9rocsolver6v33100L8copy_matI19rocblas_complex_numIfEPS3_S4_NS0_7no_maskEEEviiT0_iilT1_iilT2_13rocblas_fill_17rocblas_diagonal_
    .private_segment_fixed_size: 0
    .sgpr_count:     24
    .sgpr_spill_count: 0
    .symbol:         _ZN9rocsolver6v33100L8copy_matI19rocblas_complex_numIfEPS3_S4_NS0_7no_maskEEEviiT0_iilT1_iilT2_13rocblas_fill_17rocblas_diagonal_.kd
    .uniform_work_group_size: 1
    .uses_dynamic_stack: false
    .vgpr_count:     6
    .vgpr_spill_count: 0
    .wavefront_size: 64
  - .args:
      - .offset:         0
        .size:           4
        .value_kind:     by_value
      - .address_space:  global
        .offset:         8
        .size:           8
        .value_kind:     global_buffer
      - .offset:         16
        .size:           8
        .value_kind:     by_value
      - .offset:         24
        .size:           4
        .value_kind:     by_value
      - .offset:         28
        .size:           4
        .value_kind:     by_value
      - .offset:         32
        .size:           8
        .value_kind:     by_value
      - .offset:         40
        .size:           4
        .value_kind:     by_value
      - .offset:         44
        .size:           4
        .value_kind:     by_value
      - .address_space:  global
        .offset:         48
        .size:           8
        .value_kind:     global_buffer
      - .offset:         56
        .size:           8
        .value_kind:     by_value
      - .offset:         64
        .size:           4
        .value_kind:     by_value
      - .offset:         72
        .size:           8
        .value_kind:     by_value
      - .offset:         80
        .size:           4
        .value_kind:     hidden_block_count_x
      - .offset:         84
        .size:           4
        .value_kind:     hidden_block_count_y
      - .offset:         88
        .size:           4
        .value_kind:     hidden_block_count_z
      - .offset:         92
        .size:           2
        .value_kind:     hidden_group_size_x
      - .offset:         94
        .size:           2
        .value_kind:     hidden_group_size_y
      - .offset:         96
        .size:           2
        .value_kind:     hidden_group_size_z
      - .offset:         98
        .size:           2
        .value_kind:     hidden_remainder_x
      - .offset:         100
        .size:           2
        .value_kind:     hidden_remainder_y
      - .offset:         102
        .size:           2
        .value_kind:     hidden_remainder_z
      - .offset:         120
        .size:           8
        .value_kind:     hidden_global_offset_x
      - .offset:         128
        .size:           8
        .value_kind:     hidden_global_offset_y
      - .offset:         136
        .size:           8
        .value_kind:     hidden_global_offset_z
      - .offset:         144
        .size:           2
        .value_kind:     hidden_grid_dims
    .group_segment_fixed_size: 0
    .kernarg_segment_align: 8
    .kernarg_segment_size: 336
    .language:       OpenCL C
    .language_version:
      - 2
      - 0
    .max_flat_workgroup_size: 1024
    .name:           _ZN9rocsolver6v33100L12laswp_kernelI19rocblas_complex_numIfEiPS3_EEvT0_T1_lS5_S5_lS5_S5_PKS5_lS5_l
    .private_segment_fixed_size: 0
    .sgpr_count:     28
    .sgpr_spill_count: 0
    .symbol:         _ZN9rocsolver6v33100L12laswp_kernelI19rocblas_complex_numIfEiPS3_EEvT0_T1_lS5_S5_lS5_S5_PKS5_lS5_l.kd
    .uniform_work_group_size: 1
    .uses_dynamic_stack: false
    .vgpr_count:     12
    .vgpr_spill_count: 0
    .wavefront_size: 64
  - .args:
      - .address_space:  global
        .offset:         0
        .size:           8
        .value_kind:     global_buffer
      - .offset:         8
        .size:           4
        .value_kind:     by_value
      - .offset:         16
        .size:           16
        .value_kind:     by_value
    .group_segment_fixed_size: 0
    .kernarg_segment_align: 8
    .kernarg_segment_size: 32
    .language:       OpenCL C
    .language_version:
      - 2
      - 0
    .max_flat_workgroup_size: 32
    .name:           _ZN9rocsolver6v33100L6iota_nI19rocblas_complex_numIdEEEvPT_jS4_
    .private_segment_fixed_size: 0
    .sgpr_count:     10
    .sgpr_spill_count: 0
    .symbol:         _ZN9rocsolver6v33100L6iota_nI19rocblas_complex_numIdEEEvPT_jS4_.kd
    .uniform_work_group_size: 1
    .uses_dynamic_stack: false
    .vgpr_count:     5
    .vgpr_spill_count: 0
    .wavefront_size: 64
  - .args:
      - .offset:         0
        .size:           4
        .value_kind:     by_value
      - .address_space:  global
        .offset:         8
        .size:           8
        .value_kind:     global_buffer
      - .offset:         16
        .size:           8
        .value_kind:     by_value
      - .offset:         24
        .size:           4
        .value_kind:     hidden_block_count_x
      - .offset:         28
        .size:           4
        .value_kind:     hidden_block_count_y
      - .offset:         32
        .size:           4
        .value_kind:     hidden_block_count_z
      - .offset:         36
        .size:           2
        .value_kind:     hidden_group_size_x
      - .offset:         38
        .size:           2
        .value_kind:     hidden_group_size_y
      - .offset:         40
        .size:           2
        .value_kind:     hidden_group_size_z
      - .offset:         42
        .size:           2
        .value_kind:     hidden_remainder_x
      - .offset:         44
        .size:           2
        .value_kind:     hidden_remainder_y
      - .offset:         46
        .size:           2
        .value_kind:     hidden_remainder_z
      - .offset:         64
        .size:           8
        .value_kind:     hidden_global_offset_x
      - .offset:         72
        .size:           8
        .value_kind:     hidden_global_offset_y
      - .offset:         80
        .size:           8
        .value_kind:     hidden_global_offset_z
      - .offset:         88
        .size:           2
        .value_kind:     hidden_grid_dims
    .group_segment_fixed_size: 0
    .kernarg_segment_align: 8
    .kernarg_segment_size: 280
    .language:       OpenCL C
    .language_version:
      - 2
      - 0
    .max_flat_workgroup_size: 1024
    .name:           _ZN9rocsolver6v33100L17getf2_permut_initI19rocblas_complex_numIdEiEEvT0_PS4_l
    .private_segment_fixed_size: 0
    .sgpr_count:     12
    .sgpr_spill_count: 0
    .symbol:         _ZN9rocsolver6v33100L17getf2_permut_initI19rocblas_complex_numIdEiEEvT0_PS4_l.kd
    .uniform_work_group_size: 1
    .uses_dynamic_stack: false
    .vgpr_count:     4
    .vgpr_spill_count: 0
    .wavefront_size: 64
  - .args:
      - .offset:         0
        .size:           4
        .value_kind:     by_value
      - .address_space:  global
        .offset:         8
        .size:           8
        .value_kind:     global_buffer
      - .offset:         16
        .size:           8
        .value_kind:     by_value
      - .offset:         24
        .size:           4
        .value_kind:     by_value
      - .offset:         32
        .size:           8
        .value_kind:     by_value
      - .address_space:  global
        .offset:         40
        .size:           8
        .value_kind:     global_buffer
    .group_segment_fixed_size: 12288
    .kernarg_segment_align: 8
    .kernarg_segment_size: 48
    .language:       OpenCL C
    .language_version:
      - 2
      - 0
    .max_flat_workgroup_size: 1024
    .name:           _ZN9rocsolver6v33100L11getf2_iamaxI19rocblas_complex_numIdEiPS3_EEvT0_T1_lS5_lPS5_
    .private_segment_fixed_size: 0
    .sgpr_count:     20
    .sgpr_spill_count: 0
    .symbol:         _ZN9rocsolver6v33100L11getf2_iamaxI19rocblas_complex_numIdEiPS3_EEvT0_T1_lS5_lPS5_.kd
    .uniform_work_group_size: 1
    .uses_dynamic_stack: false
    .vgpr_count:     13
    .vgpr_spill_count: 0
    .wavefront_size: 64
  - .args:
      - .offset:         0
        .size:           4
        .value_kind:     by_value
      - .offset:         4
        .size:           4
        .value_kind:     by_value
      - .address_space:  global
        .offset:         8
        .size:           8
        .value_kind:     global_buffer
      - .offset:         16
        .size:           8
        .value_kind:     by_value
      - .offset:         24
        .size:           4
        .value_kind:     by_value
      - .offset:         28
        .size:           4
        .value_kind:     by_value
      - .offset:         32
        .size:           8
        .value_kind:     by_value
      - .address_space:  global
        .offset:         40
        .size:           8
        .value_kind:     global_buffer
      - .offset:         48
        .size:           8
        .value_kind:     by_value
      - .offset:         56
        .size:           8
        .value_kind:     by_value
      - .address_space:  global
        .offset:         64
        .size:           8
        .value_kind:     global_buffer
      - .address_space:  global
        .offset:         72
        .size:           8
        .value_kind:     global_buffer
      - .address_space:  global
        .offset:         80
        .size:           8
        .value_kind:     global_buffer
      - .offset:         88
        .size:           4
        .value_kind:     by_value
      - .address_space:  global
        .offset:         96
        .size:           8
        .value_kind:     global_buffer
      - .offset:         104
        .size:           8
        .value_kind:     by_value
      - .offset:         112
        .size:           4
        .value_kind:     hidden_block_count_x
      - .offset:         116
        .size:           4
        .value_kind:     hidden_block_count_y
      - .offset:         120
        .size:           4
        .value_kind:     hidden_block_count_z
      - .offset:         124
        .size:           2
        .value_kind:     hidden_group_size_x
      - .offset:         126
        .size:           2
        .value_kind:     hidden_group_size_y
      - .offset:         128
        .size:           2
        .value_kind:     hidden_group_size_z
      - .offset:         130
        .size:           2
        .value_kind:     hidden_remainder_x
      - .offset:         132
        .size:           2
        .value_kind:     hidden_remainder_y
      - .offset:         134
        .size:           2
        .value_kind:     hidden_remainder_z
      - .offset:         152
        .size:           8
        .value_kind:     hidden_global_offset_x
      - .offset:         160
        .size:           8
        .value_kind:     hidden_global_offset_y
      - .offset:         168
        .size:           8
        .value_kind:     hidden_global_offset_z
      - .offset:         176
        .size:           2
        .value_kind:     hidden_grid_dims
    .group_segment_fixed_size: 16384
    .kernarg_segment_align: 8
    .kernarg_segment_size: 368
    .language:       OpenCL C
    .language_version:
      - 2
      - 0
    .max_flat_workgroup_size: 1024
    .name:           _ZN9rocsolver6v33100L23getf2_check_singularityI19rocblas_complex_numIdEiiPS3_EEvT0_S5_T2_lS5_S5_lPS5_llPT_S7_PT1_S5_S7_l
    .private_segment_fixed_size: 0
    .sgpr_count:     38
    .sgpr_spill_count: 0
    .symbol:         _ZN9rocsolver6v33100L23getf2_check_singularityI19rocblas_complex_numIdEiiPS3_EEvT0_S5_T2_lS5_S5_lPS5_llPT_S7_PT1_S5_S7_l.kd
    .uniform_work_group_size: 1
    .uses_dynamic_stack: false
    .vgpr_count:     16
    .vgpr_spill_count: 0
    .wavefront_size: 64
  - .args:
      - .offset:         0
        .size:           4
        .value_kind:     by_value
      - .address_space:  global
        .offset:         8
        .size:           8
        .value_kind:     global_buffer
      - .offset:         16
        .size:           8
        .value_kind:     by_value
      - .offset:         24
        .size:           4
        .value_kind:     by_value
      - .offset:         28
        .size:           4
        .value_kind:     by_value
      - .offset:         32
        .size:           8
        .value_kind:     by_value
      - .address_space:  global
        .offset:         40
        .size:           8
        .value_kind:     global_buffer
      - .address_space:  global
        .offset:         48
        .size:           8
        .value_kind:     global_buffer
      - .offset:         56
        .size:           4
        .value_kind:     by_value
    .group_segment_fixed_size: 0
    .kernarg_segment_align: 8
    .kernarg_segment_size: 60
    .language:       OpenCL C
    .language_version:
      - 2
      - 0
    .max_flat_workgroup_size: 1024
    .name:           _ZN9rocsolver6v33100L28getf2_npvt_check_singularityI19rocblas_complex_numIdEiiPS3_EEvT0_T2_lS5_S5_lPT_PT1_S5_
    .private_segment_fixed_size: 0
    .sgpr_count:     21
    .sgpr_spill_count: 0
    .symbol:         _ZN9rocsolver6v33100L28getf2_npvt_check_singularityI19rocblas_complex_numIdEiiPS3_EEvT0_T2_lS5_S5_lPT_PT1_S5_.kd
    .uniform_work_group_size: 1
    .uses_dynamic_stack: false
    .vgpr_count:     12
    .vgpr_spill_count: 0
    .wavefront_size: 64
  - .args:
      - .offset:         0
        .size:           4
        .value_kind:     by_value
      - .offset:         4
        .size:           4
        .value_kind:     by_value
      - .offset:         8
        .size:           4
        .value_kind:     by_value
      - .address_space:  global
        .offset:         16
        .size:           8
        .value_kind:     global_buffer
      - .offset:         24
        .size:           8
        .value_kind:     by_value
      - .offset:         32
        .size:           4
        .value_kind:     by_value
      - .offset:         36
        .size:           4
        .value_kind:     by_value
      - .offset:         40
        .size:           8
        .value_kind:     by_value
      - .address_space:  global
        .offset:         48
        .size:           8
        .value_kind:     global_buffer
      - .offset:         56
        .size:           8
        .value_kind:     by_value
      - .offset:         64
        .size:           4
        .value_kind:     hidden_block_count_x
      - .offset:         68
        .size:           4
        .value_kind:     hidden_block_count_y
      - .offset:         72
        .size:           4
        .value_kind:     hidden_block_count_z
      - .offset:         76
        .size:           2
        .value_kind:     hidden_group_size_x
      - .offset:         78
        .size:           2
        .value_kind:     hidden_group_size_y
      - .offset:         80
        .size:           2
        .value_kind:     hidden_group_size_z
      - .offset:         82
        .size:           2
        .value_kind:     hidden_remainder_x
      - .offset:         84
        .size:           2
        .value_kind:     hidden_remainder_y
      - .offset:         86
        .size:           2
        .value_kind:     hidden_remainder_z
      - .offset:         104
        .size:           8
        .value_kind:     hidden_global_offset_x
      - .offset:         112
        .size:           8
        .value_kind:     hidden_global_offset_y
      - .offset:         120
        .size:           8
        .value_kind:     hidden_global_offset_z
      - .offset:         128
        .size:           2
        .value_kind:     hidden_grid_dims
      - .offset:         184
        .size:           4
        .value_kind:     hidden_dynamic_lds_size
    .group_segment_fixed_size: 0
    .kernarg_segment_align: 8
    .kernarg_segment_size: 320
    .language:       OpenCL C
    .language_version:
      - 2
      - 0
    .max_flat_workgroup_size: 1024
    .name:           _ZN9rocsolver6v33100L19getrf_row_permutateI19rocblas_complex_numIdEiPS3_EEvT0_S5_S5_T1_lS5_S5_lPS5_l
    .private_segment_fixed_size: 0
    .sgpr_count:     24
    .sgpr_spill_count: 0
    .symbol:         _ZN9rocsolver6v33100L19getrf_row_permutateI19rocblas_complex_numIdEiPS3_EEvT0_S5_S5_T1_lS5_S5_lPS5_l.kd
    .uniform_work_group_size: 1
    .uses_dynamic_stack: false
    .vgpr_count:     16
    .vgpr_spill_count: 0
    .wavefront_size: 64
  - .args:
      - .offset:         0
        .size:           4
        .value_kind:     by_value
      - .offset:         4
        .size:           4
        .value_kind:     by_value
      - .address_space:  global
        .offset:         8
        .size:           8
        .value_kind:     global_buffer
      - .offset:         16
        .size:           4
        .value_kind:     by_value
      - .offset:         20
        .size:           4
        .value_kind:     by_value
      - .offset:         24
        .size:           8
        .value_kind:     by_value
      - .address_space:  global
        .offset:         32
        .size:           8
        .value_kind:     global_buffer
      - .offset:         40
        .size:           4
        .value_kind:     by_value
      - .offset:         44
        .size:           4
        .value_kind:     by_value
      - .offset:         48
        .size:           8
        .value_kind:     by_value
      - .offset:         56
        .size:           1
        .value_kind:     by_value
      - .offset:         60
        .size:           4
        .value_kind:     by_value
      - .offset:         64
        .size:           4
        .value_kind:     by_value
      - .offset:         72
        .size:           4
        .value_kind:     hidden_block_count_x
      - .offset:         76
        .size:           4
        .value_kind:     hidden_block_count_y
      - .offset:         80
        .size:           4
        .value_kind:     hidden_block_count_z
      - .offset:         84
        .size:           2
        .value_kind:     hidden_group_size_x
      - .offset:         86
        .size:           2
        .value_kind:     hidden_group_size_y
      - .offset:         88
        .size:           2
        .value_kind:     hidden_group_size_z
      - .offset:         90
        .size:           2
        .value_kind:     hidden_remainder_x
      - .offset:         92
        .size:           2
        .value_kind:     hidden_remainder_y
      - .offset:         94
        .size:           2
        .value_kind:     hidden_remainder_z
      - .offset:         112
        .size:           8
        .value_kind:     hidden_global_offset_x
      - .offset:         120
        .size:           8
        .value_kind:     hidden_global_offset_y
      - .offset:         128
        .size:           8
        .value_kind:     hidden_global_offset_z
      - .offset:         136
        .size:           2
        .value_kind:     hidden_grid_dims
    .group_segment_fixed_size: 0
    .kernarg_segment_align: 8
    .kernarg_segment_size: 328
    .language:       OpenCL C
    .language_version:
      - 2
      - 0
    .max_flat_workgroup_size: 1024
    .name:           _ZN9rocsolver6v33100L8copy_matI19rocblas_complex_numIdEPS3_S4_NS0_7no_maskEEEviiT0_iilT1_iilT2_13rocblas_fill_17rocblas_diagonal_
    .private_segment_fixed_size: 0
    .sgpr_count:     24
    .sgpr_spill_count: 0
    .symbol:         _ZN9rocsolver6v33100L8copy_matI19rocblas_complex_numIdEPS3_S4_NS0_7no_maskEEEviiT0_iilT1_iilT2_13rocblas_fill_17rocblas_diagonal_.kd
    .uniform_work_group_size: 1
    .uses_dynamic_stack: false
    .vgpr_count:     7
    .vgpr_spill_count: 0
    .wavefront_size: 64
  - .args:
      - .offset:         0
        .size:           4
        .value_kind:     by_value
      - .address_space:  global
        .offset:         8
        .size:           8
        .value_kind:     global_buffer
      - .offset:         16
        .size:           8
        .value_kind:     by_value
      - .offset:         24
        .size:           4
        .value_kind:     by_value
      - .offset:         28
        .size:           4
        .value_kind:     by_value
      - .offset:         32
        .size:           8
        .value_kind:     by_value
      - .offset:         40
        .size:           4
        .value_kind:     by_value
      - .offset:         44
        .size:           4
        .value_kind:     by_value
      - .address_space:  global
        .offset:         48
        .size:           8
        .value_kind:     global_buffer
      - .offset:         56
        .size:           8
        .value_kind:     by_value
      - .offset:         64
        .size:           4
        .value_kind:     by_value
      - .offset:         72
        .size:           8
        .value_kind:     by_value
      - .offset:         80
        .size:           4
        .value_kind:     hidden_block_count_x
      - .offset:         84
        .size:           4
        .value_kind:     hidden_block_count_y
      - .offset:         88
        .size:           4
        .value_kind:     hidden_block_count_z
      - .offset:         92
        .size:           2
        .value_kind:     hidden_group_size_x
      - .offset:         94
        .size:           2
        .value_kind:     hidden_group_size_y
      - .offset:         96
        .size:           2
        .value_kind:     hidden_group_size_z
      - .offset:         98
        .size:           2
        .value_kind:     hidden_remainder_x
      - .offset:         100
        .size:           2
        .value_kind:     hidden_remainder_y
      - .offset:         102
        .size:           2
        .value_kind:     hidden_remainder_z
      - .offset:         120
        .size:           8
        .value_kind:     hidden_global_offset_x
      - .offset:         128
        .size:           8
        .value_kind:     hidden_global_offset_y
      - .offset:         136
        .size:           8
        .value_kind:     hidden_global_offset_z
      - .offset:         144
        .size:           2
        .value_kind:     hidden_grid_dims
    .group_segment_fixed_size: 16384
    .kernarg_segment_align: 8
    .kernarg_segment_size: 336
    .language:       OpenCL C
    .language_version:
      - 2
      - 0
    .max_flat_workgroup_size: 1024
    .name:           _ZN9rocsolver6v33100L12laswp_kernelI19rocblas_complex_numIdEiPS3_EEvT0_T1_lS5_S5_lS5_S5_PKS5_lS5_l
    .private_segment_fixed_size: 0
    .sgpr_count:     30
    .sgpr_spill_count: 0
    .symbol:         _ZN9rocsolver6v33100L12laswp_kernelI19rocblas_complex_numIdEiPS3_EEvT0_T1_lS5_S5_lS5_S5_PKS5_lS5_l.kd
    .uniform_work_group_size: 1
    .uses_dynamic_stack: false
    .vgpr_count:     17
    .vgpr_spill_count: 0
    .wavefront_size: 64
amdhsa.target:   amdgcn-amd-amdhsa--gfx906
amdhsa.version:
  - 1
  - 2
...

	.end_amdgpu_metadata
